;; amdgpu-corpus repo=ROCm/rocFFT kind=compiled arch=gfx1201 opt=O3
	.text
	.amdgcn_target "amdgcn-amd-amdhsa--gfx1201"
	.amdhsa_code_object_version 6
	.protected	bluestein_single_fwd_len289_dim1_dp_op_CI_CI ; -- Begin function bluestein_single_fwd_len289_dim1_dp_op_CI_CI
	.globl	bluestein_single_fwd_len289_dim1_dp_op_CI_CI
	.p2align	8
	.type	bluestein_single_fwd_len289_dim1_dp_op_CI_CI,@function
bluestein_single_fwd_len289_dim1_dp_op_CI_CI: ; @bluestein_single_fwd_len289_dim1_dp_op_CI_CI
; %bb.0:
	s_load_b128 s[12:15], s[0:1], 0x28
	v_mul_u32_u24_e32 v1, 0xf10, v0
	s_mov_b32 s2, exec_lo
	s_delay_alu instid0(VALU_DEP_1) | instskip(NEXT) | instid1(VALU_DEP_1)
	v_lshrrev_b32_e32 v1, 16, v1
	v_mad_co_u64_u32 v[254:255], null, ttmp9, 7, v[1:2]
	v_mov_b32_e32 v255, 0
	s_wait_kmcnt 0x0
	s_delay_alu instid0(VALU_DEP_1)
	v_cmpx_gt_u64_e64 s[12:13], v[254:255]
	s_cbranch_execz .LBB0_2
; %bb.1:
	s_clause 0x1
	s_load_b128 s[4:7], s[0:1], 0x18
	s_load_b128 s[8:11], s[0:1], 0x0
	v_mul_lo_u16 v1, v1, 17
	s_mov_b32 s30, 0x7c9e640b
	s_mov_b32 s31, 0xbfeca52d
	;; [unrolled: 1-line block ×4, first 2 shown]
	v_sub_nc_u16 v160, v0, v1
	s_mov_b32 s20, 0x2b2883cd
	s_mov_b32 s39, 0xbfd71e95
	;; [unrolled: 1-line block ×4, first 2 shown]
	v_and_b32_e32 v7, 0xffff, v160
	s_mov_b32 s36, 0x2a9d6da3
	s_mov_b32 s12, 0x6c9a05f6
	;; [unrolled: 1-line block ×4, first 2 shown]
	v_lshlrev_b32_e32 v253, 4, v7
	v_mov_b32_e32 v185, v7
	s_mov_b32 s37, 0xbfe58eea
	s_wait_kmcnt 0x0
	s_load_b128 s[16:19], s[4:5], 0x0
	s_mov_b32 s13, 0xbfe9895b
	s_mov_b32 s41, 0xbfc7851a
	scratch_store_b32 off, v185, off offset:256 ; 4-byte Folded Spill
	s_mov_b32 s29, 0x3fedd6d0
	s_mov_b32 s24, 0x75d4884
	;; [unrolled: 1-line block ×16, first 2 shown]
	s_wait_kmcnt 0x0
	v_mad_co_u64_u32 v[0:1], null, s18, v254, 0
	v_mad_co_u64_u32 v[2:3], null, s16, v7, 0
	s_mul_u64 s[2:3], s[16:17], 0x110
	s_mov_b32 s54, s40
	s_mov_b32 s53, 0x3fe58eea
	s_mov_b32 s52, s36
	s_mov_b32 s57, 0x3fe9895b
	s_mov_b32 s56, s12
	s_delay_alu instid0(VALU_DEP_1)
	v_mad_co_u64_u32 v[4:5], null, s19, v254, v[1:2]
	s_mov_b32 s18, 0x4363dd80
	s_mov_b32 s19, 0xbfe0d888
	s_wait_alu 0xfffe
	s_mov_b32 s50, s18
	s_mov_b32 s59, 0x3fefdd0d
	;; [unrolled: 1-line block ×3, first 2 shown]
	s_load_b64 s[0:1], s[0:1], 0x38
	v_mad_co_u64_u32 v[5:6], null, s17, v7, v[3:4]
	v_mov_b32_e32 v1, v4
	s_mov_b32 s16, 0xc61f0d01
	s_mov_b32 s17, 0xbfd183b1
	s_delay_alu instid0(VALU_DEP_1) | instskip(NEXT) | instid1(VALU_DEP_3)
	v_lshlrev_b64_e32 v[0:1], 4, v[0:1]
	v_mov_b32_e32 v3, v5
	s_delay_alu instid0(VALU_DEP_2) | instskip(NEXT) | instid1(VALU_DEP_2)
	v_add_co_u32 v0, vcc_lo, s14, v0
	v_lshlrev_b64_e32 v[2:3], 4, v[2:3]
	s_delay_alu instid0(VALU_DEP_4) | instskip(SKIP_2) | instid1(VALU_DEP_2)
	v_add_co_ci_u32_e32 v1, vcc_lo, s15, v1, vcc_lo
	s_mov_b32 s14, 0x3259b75e
	s_mov_b32 s15, 0x3fb79ee6
	v_add_co_u32 v4, vcc_lo, v0, v2
	s_wait_alu 0xfffd
	v_add_co_ci_u32_e32 v5, vcc_lo, v1, v3, vcc_lo
	global_load_b128 v[241:244], v253, s[8:9]
	global_load_b128 v[0:3], v[4:5], off
	v_add_co_u32 v8, vcc_lo, v4, s2
	s_wait_alu 0xfffd
	v_add_co_ci_u32_e32 v9, vcc_lo, s3, v5, vcc_lo
	global_load_b128 v[22:25], v253, s[8:9] offset:272
	global_load_b128 v[4:7], v[8:9], off
	v_add_co_u32 v12, vcc_lo, v8, s2
	s_wait_alu 0xfffd
	v_add_co_ci_u32_e32 v13, vcc_lo, s3, v9, vcc_lo
	s_clause 0x2
	global_load_b128 v[18:21], v253, s[8:9] offset:544
	global_load_b128 v[38:41], v253, s[8:9] offset:3808
	;; [unrolled: 1-line block ×3, first 2 shown]
	global_load_b128 v[8:11], v[12:13], off
	s_clause 0x2
	global_load_b128 v[26:29], v253, s[8:9] offset:2992
	global_load_b128 v[30:33], v253, s[8:9] offset:3264
	;; [unrolled: 1-line block ×3, first 2 shown]
	s_wait_loadcnt 0x9
	v_mul_f64_e32 v[14:15], v[2:3], v[243:244]
	v_mul_f64_e32 v[16:17], v[0:1], v[243:244]
	s_wait_loadcnt 0x5
	scratch_store_b128 off, v[38:41], off offset:192 ; 16-byte Folded Spill
	s_wait_loadcnt 0x4
	scratch_store_b128 off, v[42:45], off offset:208 ; 16-byte Folded Spill
	;; [unrolled: 2-line block ×5, first 2 shown]
	v_fma_f64 v[68:69], v[0:1], v[241:242], v[14:15]
	v_fma_f64 v[70:71], v[2:3], v[241:242], -v[16:17]
	v_mul_f64_e32 v[0:1], v[6:7], v[24:25]
	v_mul_f64_e32 v[2:3], v[4:5], v[24:25]
	global_load_b128 v[14:17], v253, s[8:9] offset:2176
	scratch_store_b128 off, v[18:21], off offset:144 ; 16-byte Folded Spill
	v_fma_f64 v[72:73], v[4:5], v[22:23], v[0:1]
	v_fma_f64 v[74:75], v[6:7], v[22:23], -v[2:3]
	v_mul_f64_e32 v[0:1], v[10:11], v[20:21]
	v_mul_f64_e32 v[2:3], v[8:9], v[20:21]
	v_add_co_u32 v4, vcc_lo, v12, s2
	s_wait_alu 0xfffd
	v_add_co_ci_u32_e32 v5, vcc_lo, s3, v13, vcc_lo
	s_delay_alu instid0(VALU_DEP_4) | instskip(NEXT) | instid1(VALU_DEP_4)
	v_fma_f64 v[76:77], v[8:9], v[18:19], v[0:1]
	v_fma_f64 v[78:79], v[10:11], v[18:19], -v[2:3]
	s_clause 0x1
	global_load_b128 v[10:13], v253, s[8:9] offset:816
	global_load_b128 v[18:21], v253, s[8:9] offset:2448
	global_load_b128 v[0:3], v[4:5], off
	v_add_co_u32 v4, vcc_lo, v4, s2
	s_wait_alu 0xfffd
	v_add_co_ci_u32_e32 v5, vcc_lo, s3, v5, vcc_lo
	scratch_store_b128 off, v[22:25], off offset:240 ; 16-byte Folded Spill
	global_load_b128 v[22:25], v253, s[8:9] offset:2720
	s_wait_loadcnt 0x4
	scratch_store_b128 off, v[14:17], off offset:80 ; 16-byte Folded Spill
	s_wait_loadcnt 0x3
	scratch_store_b128 off, v[10:13], off offset:160 ; 16-byte Folded Spill
	;; [unrolled: 2-line block ×3, first 2 shown]
	s_wait_loadcnt 0x1
	v_mul_f64_e32 v[6:7], v[2:3], v[12:13]
	v_mul_f64_e32 v[8:9], v[0:1], v[12:13]
	s_wait_loadcnt 0x0
	scratch_store_b128 off, v[22:25], off   ; 16-byte Folded Spill
	v_fma_f64 v[80:81], v[0:1], v[10:11], v[6:7]
	v_fma_f64 v[82:83], v[2:3], v[10:11], -v[8:9]
	global_load_b128 v[10:13], v253, s[8:9] offset:1088
	global_load_b128 v[0:3], v[4:5], off
	v_add_co_u32 v4, vcc_lo, v4, s2
	s_wait_alu 0xfffd
	v_add_co_ci_u32_e32 v5, vcc_lo, s3, v5, vcc_lo
	s_wait_loadcnt 0x1
	scratch_store_b128 off, v[10:13], off offset:176 ; 16-byte Folded Spill
	s_wait_loadcnt 0x0
	v_mul_f64_e32 v[6:7], v[2:3], v[12:13]
	v_mul_f64_e32 v[8:9], v[0:1], v[12:13]
	s_delay_alu instid0(VALU_DEP_2) | instskip(NEXT) | instid1(VALU_DEP_2)
	v_fma_f64 v[84:85], v[0:1], v[10:11], v[6:7]
	v_fma_f64 v[86:87], v[2:3], v[10:11], -v[8:9]
	global_load_b128 v[10:13], v253, s[8:9] offset:1360
	global_load_b128 v[0:3], v[4:5], off
	v_add_co_u32 v4, vcc_lo, v4, s2
	s_wait_alu 0xfffd
	v_add_co_ci_u32_e32 v5, vcc_lo, s3, v5, vcc_lo
	s_wait_loadcnt 0x1
	scratch_store_b128 off, v[10:13], off offset:128 ; 16-byte Folded Spill
	s_wait_loadcnt 0x0
	v_mul_f64_e32 v[6:7], v[2:3], v[12:13]
	v_mul_f64_e32 v[8:9], v[0:1], v[12:13]
	s_delay_alu instid0(VALU_DEP_2) | instskip(NEXT) | instid1(VALU_DEP_2)
	;; [unrolled: 13-line block ×3, first 2 shown]
	v_fma_f64 v[92:93], v[0:1], v[10:11], v[6:7]
	v_fma_f64 v[94:95], v[2:3], v[10:11], -v[8:9]
	global_load_b128 v[10:13], v253, s[8:9] offset:1904
	global_load_b128 v[0:3], v[4:5], off
	s_wait_loadcnt 0x1
	scratch_store_b128 off, v[10:13], off offset:48 ; 16-byte Folded Spill
	s_wait_loadcnt 0x0
	v_mul_f64_e32 v[8:9], v[0:1], v[12:13]
	v_mul_f64_e32 v[6:7], v[2:3], v[12:13]
	s_delay_alu instid0(VALU_DEP_2) | instskip(SKIP_3) | instid1(VALU_DEP_4)
	v_fma_f64 v[2:3], v[2:3], v[10:11], -v[8:9]
	v_add_co_u32 v8, vcc_lo, v4, s2
	s_wait_alu 0xfffd
	v_add_co_ci_u32_e32 v9, vcc_lo, s3, v5, vcc_lo
	v_fma_f64 v[0:1], v[0:1], v[10:11], v[6:7]
	global_load_b128 v[4:7], v[8:9], off
	s_wait_loadcnt 0x0
	v_mul_f64_e32 v[12:13], v[4:5], v[16:17]
	v_mul_f64_e32 v[10:11], v[6:7], v[16:17]
	s_delay_alu instid0(VALU_DEP_2) | instskip(SKIP_3) | instid1(VALU_DEP_4)
	v_fma_f64 v[6:7], v[6:7], v[14:15], -v[12:13]
	v_add_co_u32 v12, vcc_lo, v8, s2
	s_wait_alu 0xfffd
	v_add_co_ci_u32_e32 v13, vcc_lo, s3, v9, vcc_lo
	v_fma_f64 v[4:5], v[4:5], v[14:15], v[10:11]
	global_load_b128 v[8:11], v[12:13], off
	;; [unrolled: 10-line block ×8, first 2 shown]
	v_add_co_u32 v36, vcc_lo, v36, s2
	s_wait_alu 0xfffd
	v_add_co_ci_u32_e32 v37, vcc_lo, s3, v37, vcc_lo
	s_mov_b32 s2, 0x923c349f
	s_mov_b32 s3, 0xbfeec746
	s_wait_alu 0xfffe
	s_mov_b32 s46, s2
	s_wait_loadcnt 0x0
	v_mul_f64_e32 v[38:39], v[34:35], v[44:45]
	v_mul_f64_e32 v[40:41], v[32:33], v[44:45]
	s_delay_alu instid0(VALU_DEP_2)
	v_fma_f64 v[32:33], v[32:33], v[42:43], v[38:39]
	global_load_b128 v[36:39], v[36:37], off
	global_load_b128 v[44:47], v253, s[8:9] offset:4352
	v_fma_f64 v[34:35], v[34:35], v[42:43], -v[40:41]
	s_wait_loadcnt 0x0
	v_mul_f64_e32 v[40:41], v[38:39], v[46:47]
	v_mul_f64_e32 v[42:43], v[36:37], v[46:47]
	scratch_store_b128 off, v[44:47], off offset:224 ; 16-byte Folded Spill
	v_fma_f64 v[36:37], v[36:37], v[44:45], v[40:41]
	v_mul_hi_u32 v40, 0x24924925, v254
	v_fma_f64 v[38:39], v[38:39], v[44:45], -v[42:43]
	s_delay_alu instid0(VALU_DEP_2) | instskip(NEXT) | instid1(VALU_DEP_1)
	v_sub_nc_u32_e32 v41, v254, v40
	v_lshrrev_b32_e32 v41, 1, v41
	s_delay_alu instid0(VALU_DEP_1) | instskip(NEXT) | instid1(VALU_DEP_1)
	v_add_nc_u32_e32 v40, v41, v40
	v_lshrrev_b32_e32 v40, 2, v40
	s_delay_alu instid0(VALU_DEP_1) | instskip(NEXT) | instid1(VALU_DEP_1)
	v_mul_lo_u32 v40, v40, 7
	v_sub_nc_u32_e32 v40, v254, v40
	s_delay_alu instid0(VALU_DEP_1) | instskip(NEXT) | instid1(VALU_DEP_1)
	v_mul_u32_u24_e32 v40, 0x121, v40
	v_lshlrev_b32_e32 v161, 4, v40
	s_delay_alu instid0(VALU_DEP_1)
	v_add_nc_u32_e32 v180, v253, v161
	ds_store_b128 v180, v[68:71]
	ds_store_b128 v180, v[72:75] offset:272
	ds_store_b128 v180, v[76:79] offset:544
	;; [unrolled: 1-line block ×16, first 2 shown]
	s_load_b128 s[4:7], s[6:7], 0x0
	global_wb scope:SCOPE_SE
	s_wait_storecnt_dscnt 0x0
	s_wait_kmcnt 0x0
	s_barrier_signal -1
	s_barrier_wait -1
	global_inv scope:SCOPE_SE
	ds_load_b128 v[68:71], v180
	ds_load_b128 v[72:75], v180 offset:272
	ds_load_b128 v[76:79], v180 offset:544
	;; [unrolled: 1-line block ×10, first 2 shown]
	s_wait_dscnt 0x9
	v_add_f64_e32 v[0:1], v[68:69], v[72:73]
	v_add_f64_e32 v[2:3], v[70:71], v[74:75]
	s_wait_dscnt 0x1
	v_add_f64_e64 v[110:111], v[100:101], -v[104:105]
	s_wait_dscnt 0x0
	v_add_f64_e64 v[124:125], v[96:97], -v[8:9]
	v_add_f64_e64 v[126:127], v[98:99], -v[10:11]
	;; [unrolled: 1-line block ×3, first 2 shown]
	v_add_f64_e32 v[0:1], v[0:1], v[76:77]
	v_add_f64_e32 v[2:3], v[2:3], v[78:79]
	v_mul_f64_e32 v[178:179], s[44:45], v[124:125]
	v_mul_f64_e32 v[176:177], s[44:45], v[126:127]
	;; [unrolled: 1-line block ×3, first 2 shown]
	v_add_f64_e32 v[0:1], v[0:1], v[80:81]
	v_add_f64_e32 v[2:3], v[2:3], v[82:83]
	s_delay_alu instid0(VALU_DEP_2) | instskip(NEXT) | instid1(VALU_DEP_2)
	v_add_f64_e32 v[0:1], v[0:1], v[84:85]
	v_add_f64_e32 v[2:3], v[2:3], v[86:87]
	s_delay_alu instid0(VALU_DEP_2) | instskip(NEXT) | instid1(VALU_DEP_2)
	;; [unrolled: 3-line block ×5, first 2 shown]
	v_add_f64_e32 v[4:5], v[0:1], v[100:101]
	v_add_f64_e32 v[6:7], v[2:3], v[102:103]
	;; [unrolled: 1-line block ×4, first 2 shown]
	s_delay_alu instid0(VALU_DEP_4) | instskip(NEXT) | instid1(VALU_DEP_4)
	v_add_f64_e32 v[12:13], v[4:5], v[104:105]
	v_add_f64_e32 v[14:15], v[6:7], v[106:107]
	v_add_f64_e32 v[4:5], v[96:97], v[8:9]
	v_add_f64_e32 v[6:7], v[98:99], v[10:11]
	s_delay_alu instid0(VALU_DEP_4) | instskip(NEXT) | instid1(VALU_DEP_4)
	v_add_f64_e32 v[16:17], v[12:13], v[8:9]
	v_add_f64_e32 v[18:19], v[14:15], v[10:11]
	ds_load_b128 v[12:15], v180 offset:2992
	s_wait_dscnt 0x0
	v_add_f64_e32 v[8:9], v[92:93], v[12:13]
	v_add_f64_e32 v[10:11], v[94:95], v[14:15]
	v_add_f64_e64 v[128:129], v[92:93], -v[12:13]
	v_add_f64_e64 v[130:131], v[94:95], -v[14:15]
	v_add_f64_e32 v[20:21], v[16:17], v[12:13]
	v_add_f64_e32 v[22:23], v[18:19], v[14:15]
	ds_load_b128 v[16:19], v180 offset:3264
	s_wait_dscnt 0x0
	v_add_f64_e32 v[12:13], v[88:89], v[16:17]
	v_add_f64_e32 v[14:15], v[90:91], v[18:19]
	v_add_f64_e64 v[132:133], v[88:89], -v[16:17]
	v_add_f64_e64 v[134:135], v[90:91], -v[18:19]
	v_mul_f64_e32 v[172:173], s[46:47], v[130:131]
	v_mul_f64_e32 v[174:175], s[46:47], v[128:129]
	v_add_f64_e32 v[24:25], v[20:21], v[16:17]
	v_add_f64_e32 v[26:27], v[22:23], v[18:19]
	ds_load_b128 v[20:23], v180 offset:3536
	s_wait_dscnt 0x0
	v_add_f64_e32 v[16:17], v[84:85], v[20:21]
	v_add_f64_e32 v[18:19], v[86:87], v[22:23]
	v_add_f64_e64 v[136:137], v[84:85], -v[20:21]
	v_add_f64_e64 v[138:139], v[86:87], -v[22:23]
	v_mul_f64_e32 v[168:169], s[50:51], v[134:135]
	v_mul_f64_e32 v[170:171], s[50:51], v[132:133]
	v_add_f64_e32 v[28:29], v[24:25], v[20:21]
	v_add_f64_e32 v[30:31], v[26:27], v[22:23]
	ds_load_b128 v[24:27], v180 offset:3808
	s_wait_dscnt 0x0
	v_add_f64_e32 v[20:21], v[80:81], v[24:25]
	v_add_f64_e32 v[22:23], v[82:83], v[26:27]
	v_add_f64_e64 v[36:37], v[80:81], -v[24:25]
	v_add_f64_e64 v[38:39], v[82:83], -v[26:27]
	v_mul_f64_e32 v[164:165], s[40:41], v[138:139]
	v_mul_f64_e32 v[166:167], s[40:41], v[136:137]
	v_add_f64_e32 v[32:33], v[28:29], v[24:25]
	v_add_f64_e32 v[34:35], v[30:31], v[26:27]
	ds_load_b128 v[28:31], v180 offset:4080
	s_wait_dscnt 0x0
	v_add_f64_e32 v[24:25], v[76:77], v[28:29]
	v_add_f64_e32 v[26:27], v[78:79], v[30:31]
	v_add_f64_e64 v[140:141], v[76:77], -v[28:29]
	v_add_f64_e64 v[142:143], v[78:79], -v[30:31]
	v_mul_f64_e32 v[162:163], s[12:13], v[36:37]
	v_add_f64_e32 v[32:33], v[32:33], v[28:29]
	v_add_f64_e32 v[34:35], v[34:35], v[30:31]
	ds_load_b128 v[28:31], v180 offset:4352
	global_wb scope:SCOPE_SE
	s_wait_dscnt 0x0
	s_barrier_signal -1
	s_barrier_wait -1
	global_inv scope:SCOPE_SE
	v_add_f64_e64 v[40:41], v[74:75], -v[30:31]
	v_add_f64_e32 v[42:43], v[72:73], v[28:29]
	v_add_f64_e64 v[46:47], v[72:73], -v[28:29]
	v_add_f64_e32 v[44:45], v[74:75], v[30:31]
	v_add_f64_e32 v[72:73], v[32:33], v[28:29]
	;; [unrolled: 1-line block ×3, first 2 shown]
	v_mul_f64_e32 v[32:33], s[30:31], v[40:41]
	v_mul_f64_e32 v[28:29], s[38:39], v[40:41]
	;; [unrolled: 1-line block ×11, first 2 shown]
	v_fma_f64 v[60:61], v[42:43], s[20:21], -v[32:33]
	v_fma_f64 v[32:33], v[42:43], s[20:21], v[32:33]
	v_fma_f64 v[54:55], v[42:43], s[28:29], -v[28:29]
	v_fma_f64 v[64:65], v[42:43], s[14:15], -v[34:35]
	v_fma_f64 v[34:35], v[42:43], s[14:15], v[34:35]
	v_fma_f64 v[28:29], v[42:43], s[28:29], v[28:29]
	v_fma_f64 v[56:57], v[42:43], s[24:25], -v[30:31]
	v_fma_f64 v[58:59], v[42:43], s[24:25], v[30:31]
	v_fma_f64 v[66:67], v[42:43], s[16:17], -v[48:49]
	;; [unrolled: 2-line block ×5, first 2 shown]
	v_fma_f64 v[104:105], v[42:43], s[42:43], v[40:41]
	v_mul_f64_e32 v[30:31], s[38:39], v[46:47]
	v_mul_f64_e32 v[40:41], s[36:37], v[46:47]
	;; [unrolled: 1-line block ×5, first 2 shown]
	v_fma_f64 v[106:107], v[44:45], s[16:17], v[62:63]
	v_fma_f64 v[108:109], v[44:45], s[16:17], -v[62:63]
	v_fma_f64 v[112:113], v[44:45], s[26:27], v[76:77]
	v_fma_f64 v[114:115], v[44:45], s[26:27], -v[76:77]
	;; [unrolled: 2-line block ×3, first 2 shown]
	v_add_f64_e32 v[62:63], v[68:69], v[60:61]
	v_add_f64_e32 v[90:91], v[68:69], v[32:33]
	v_mul_f64_e32 v[32:33], s[36:37], v[142:143]
	v_add_f64_e32 v[156:157], v[68:69], v[54:55]
	v_add_f64_e32 v[98:99], v[68:69], v[34:35]
	;; [unrolled: 1-line block ×9, first 2 shown]
	v_mul_f64_e32 v[84:85], s[22:23], v[140:141]
	v_mul_f64_e32 v[86:87], s[12:13], v[38:39]
	v_add_f64_e32 v[146:147], v[68:69], v[104:105]
	v_fma_f64 v[80:81], v[44:45], s[28:29], v[30:31]
	v_fma_f64 v[82:83], v[44:45], s[24:25], v[40:41]
	;; [unrolled: 1-line block ×3, first 2 shown]
	v_fma_f64 v[42:43], v[44:45], s[20:21], -v[42:43]
	v_fma_f64 v[120:121], v[44:45], s[42:43], v[46:47]
	v_fma_f64 v[144:145], v[44:45], s[42:43], -v[46:47]
	v_add_f64_e32 v[46:47], v[68:69], v[100:101]
	v_mul_f64_e32 v[100:101], s[30:31], v[38:39]
	v_mul_f64_e32 v[104:105], s[22:23], v[138:139]
	v_add_f64_e32 v[56:57], v[70:71], v[106:107]
	v_mul_f64_e32 v[106:107], s[22:23], v[136:137]
	v_add_f64_e32 v[152:153], v[70:71], v[108:109]
	v_mul_f64_e32 v[108:109], s[2:3], v[134:135]
	v_fma_f64 v[92:93], v[44:45], s[14:15], v[52:53]
	v_fma_f64 v[52:53], v[44:45], s[14:15], -v[52:53]
	v_add_f64_e32 v[148:149], v[70:71], v[112:113]
	v_mul_f64_e32 v[112:113], s[2:3], v[132:133]
	v_add_f64_e32 v[48:49], v[70:71], v[116:117]
	v_mul_f64_e32 v[116:117], s[12:13], v[128:129]
	v_fma_f64 v[30:31], v[44:45], s[28:29], -v[30:31]
	v_fma_f64 v[40:41], v[44:45], s[24:25], -v[40:41]
	v_add_f64_e32 v[44:45], v[70:71], v[118:119]
	v_mul_f64_e32 v[118:119], s[18:19], v[126:127]
	v_fma_f64 v[34:35], v[24:25], s[24:25], -v[32:33]
	v_add_f64_e32 v[158:159], v[70:71], v[80:81]
	v_add_f64_e32 v[76:77], v[70:71], v[82:83]
	;; [unrolled: 1-line block ×7, first 2 shown]
	v_fma_f64 v[68:69], v[20:21], s[20:21], -v[100:101]
	v_mul_f64_e32 v[102:103], s[30:31], v[36:37]
	v_add_f64_e32 v[144:145], v[70:71], v[144:145]
	v_add_f64_e32 v[92:93], v[70:71], v[92:93]
	;; [unrolled: 1-line block ×4, first 2 shown]
	v_mul_f64_e32 v[114:115], s[12:13], v[130:131]
	v_add_f64_e32 v[30:31], v[70:71], v[30:31]
	v_add_f64_e32 v[80:81], v[70:71], v[40:41]
	;; [unrolled: 1-line block ×3, first 2 shown]
	v_mul_f64_e32 v[120:121], s[18:19], v[124:125]
	v_add_f64_e32 v[64:65], v[34:35], v[156:157]
	v_mul_f64_e32 v[34:35], s[36:37], v[140:141]
	v_mul_f64_e32 v[156:157], s[40:41], v[122:123]
	s_delay_alu instid0(VALU_DEP_3) | instskip(NEXT) | instid1(VALU_DEP_3)
	v_add_f64_e32 v[64:65], v[68:69], v[64:65]
	v_fma_f64 v[66:67], v[26:27], s[24:25], v[34:35]
	v_fma_f64 v[68:69], v[22:23], s[20:21], v[102:103]
	s_delay_alu instid0(VALU_DEP_2) | instskip(SKIP_1) | instid1(VALU_DEP_2)
	v_add_f64_e32 v[66:67], v[66:67], v[158:159]
	v_mul_f64_e32 v[158:159], s[40:41], v[110:111]
	v_add_f64_e32 v[66:67], v[68:69], v[66:67]
	v_fma_f64 v[68:69], v[16:17], s[14:15], -v[104:105]
	s_delay_alu instid0(VALU_DEP_1) | instskip(SKIP_1) | instid1(VALU_DEP_1)
	v_add_f64_e32 v[64:65], v[68:69], v[64:65]
	v_fma_f64 v[68:69], v[18:19], s[14:15], v[106:107]
	v_add_f64_e32 v[66:67], v[68:69], v[66:67]
	v_fma_f64 v[68:69], v[12:13], s[16:17], -v[108:109]
	s_delay_alu instid0(VALU_DEP_1) | instskip(SKIP_1) | instid1(VALU_DEP_1)
	v_add_f64_e32 v[64:65], v[68:69], v[64:65]
	v_fma_f64 v[68:69], v[14:15], s[16:17], v[112:113]
	;; [unrolled: 5-line block ×5, first 2 shown]
	v_add_f64_e32 v[70:71], v[64:65], v[66:67]
	v_mul_f64_e32 v[64:65], s[22:23], v[142:143]
	s_delay_alu instid0(VALU_DEP_1) | instskip(SKIP_1) | instid1(VALU_DEP_2)
	v_fma_f64 v[66:67], v[24:25], s[14:15], -v[64:65]
	v_fma_f64 v[64:65], v[24:25], s[14:15], v[64:65]
	v_add_f64_e32 v[66:67], v[66:67], v[78:79]
	v_fma_f64 v[78:79], v[26:27], s[14:15], v[84:85]
	s_delay_alu instid0(VALU_DEP_3) | instskip(SKIP_1) | instid1(VALU_DEP_3)
	v_add_f64_e32 v[64:65], v[64:65], v[82:83]
	v_fma_f64 v[82:83], v[26:27], s[14:15], -v[84:85]
	v_add_f64_e32 v[76:77], v[78:79], v[76:77]
	v_fma_f64 v[78:79], v[20:21], s[26:27], -v[86:87]
	s_delay_alu instid0(VALU_DEP_3) | instskip(SKIP_1) | instid1(VALU_DEP_3)
	v_add_f64_e32 v[80:81], v[82:83], v[80:81]
	v_fma_f64 v[82:83], v[20:21], s[26:27], v[86:87]
	v_add_f64_e32 v[66:67], v[78:79], v[66:67]
	v_fma_f64 v[78:79], v[22:23], s[26:27], v[162:163]
	s_delay_alu instid0(VALU_DEP_3) | instskip(SKIP_2) | instid1(VALU_DEP_4)
	v_add_f64_e32 v[64:65], v[82:83], v[64:65]
	v_fma_f64 v[82:83], v[22:23], s[26:27], -v[162:163]
	v_mul_f64_e32 v[162:163], s[54:55], v[38:39]
	v_add_f64_e32 v[76:77], v[78:79], v[76:77]
	v_fma_f64 v[78:79], v[16:17], s[42:43], -v[164:165]
	s_delay_alu instid0(VALU_DEP_4) | instskip(SKIP_2) | instid1(VALU_DEP_4)
	v_add_f64_e32 v[80:81], v[82:83], v[80:81]
	v_fma_f64 v[82:83], v[16:17], s[42:43], v[164:165]
	v_mul_f64_e32 v[164:165], s[54:55], v[36:37]
	v_add_f64_e32 v[66:67], v[78:79], v[66:67]
	v_fma_f64 v[78:79], v[18:19], s[42:43], v[166:167]
	s_delay_alu instid0(VALU_DEP_4) | instskip(SKIP_2) | instid1(VALU_DEP_4)
	v_add_f64_e32 v[64:65], v[82:83], v[64:65]
	v_fma_f64 v[82:83], v[18:19], s[42:43], -v[166:167]
	v_mul_f64_e32 v[166:167], s[46:47], v[138:139]
	v_add_f64_e32 v[76:77], v[78:79], v[76:77]
	v_fma_f64 v[78:79], v[12:13], s[34:35], -v[168:169]
	s_delay_alu instid0(VALU_DEP_4) | instskip(SKIP_2) | instid1(VALU_DEP_4)
	v_add_f64_e32 v[80:81], v[82:83], v[80:81]
	v_fma_f64 v[82:83], v[12:13], s[34:35], v[168:169]
	v_mul_f64_e32 v[168:169], s[46:47], v[136:137]
	v_add_f64_e32 v[66:67], v[78:79], v[66:67]
	v_fma_f64 v[78:79], v[14:15], s[34:35], v[170:171]
	s_delay_alu instid0(VALU_DEP_4) | instskip(SKIP_2) | instid1(VALU_DEP_4)
	;; [unrolled: 12-line block ×4, first 2 shown]
	v_add_f64_e32 v[64:65], v[82:83], v[64:65]
	v_fma_f64 v[82:83], v[6:7], s[20:21], -v[178:179]
	v_mul_f64_e32 v[178:179], s[22:23], v[126:127]
	v_add_f64_e32 v[78:79], v[78:79], v[76:77]
	v_fma_f64 v[76:77], v[0:1], s[28:29], -v[181:182]
	s_delay_alu instid0(VALU_DEP_4) | instskip(SKIP_2) | instid1(VALU_DEP_4)
	v_add_f64_e32 v[82:83], v[82:83], v[80:81]
	v_fma_f64 v[80:81], v[0:1], s[28:29], v[181:182]
	v_mul_f64_e32 v[181:182], s[22:23], v[124:125]
	v_add_f64_e32 v[76:77], v[76:77], v[66:67]
	v_mul_f64_e32 v[66:67], s[48:49], v[110:111]
	s_delay_alu instid0(VALU_DEP_4) | instskip(SKIP_1) | instid1(VALU_DEP_3)
	v_add_f64_e32 v[80:81], v[80:81], v[64:65]
	v_mul_f64_e32 v[64:65], s[12:13], v[142:143]
	v_fma_f64 v[183:184], v[2:3], s[28:29], v[66:67]
	v_fma_f64 v[66:67], v[2:3], s[28:29], -v[66:67]
	s_delay_alu instid0(VALU_DEP_2) | instskip(NEXT) | instid1(VALU_DEP_2)
	v_add_f64_e32 v[78:79], v[183:184], v[78:79]
	v_add_f64_e32 v[82:83], v[66:67], v[82:83]
	v_fma_f64 v[66:67], v[24:25], s[26:27], -v[64:65]
	v_mul_f64_e32 v[183:184], s[18:19], v[122:123]
	s_delay_alu instid0(VALU_DEP_2) | instskip(SKIP_1) | instid1(VALU_DEP_1)
	v_add_f64_e32 v[62:63], v[66:67], v[62:63]
	v_mul_f64_e32 v[66:67], s[12:13], v[140:141]
	v_fma_f64 v[84:85], v[26:27], s[26:27], v[66:67]
	s_delay_alu instid0(VALU_DEP_1) | instskip(SKIP_1) | instid1(VALU_DEP_1)
	v_add_f64_e32 v[60:61], v[84:85], v[60:61]
	v_fma_f64 v[84:85], v[20:21], s[42:43], -v[162:163]
	v_add_f64_e32 v[62:63], v[84:85], v[62:63]
	v_fma_f64 v[84:85], v[22:23], s[42:43], v[164:165]
	s_delay_alu instid0(VALU_DEP_1) | instskip(SKIP_1) | instid1(VALU_DEP_1)
	v_add_f64_e32 v[60:61], v[84:85], v[60:61]
	v_fma_f64 v[84:85], v[16:17], s[16:17], -v[166:167]
	v_add_f64_e32 v[62:63], v[84:85], v[62:63]
	;; [unrolled: 5-line block ×6, first 2 shown]
	v_mul_f64_e32 v[62:63], s[18:19], v[110:111]
	s_delay_alu instid0(VALU_DEP_1) | instskip(SKIP_1) | instid1(VALU_DEP_2)
	v_fma_f64 v[86:87], v[2:3], s[34:35], v[62:63]
	v_fma_f64 v[62:63], v[2:3], s[34:35], -v[62:63]
	v_add_f64_e32 v[86:87], v[86:87], v[60:61]
	v_fma_f64 v[60:61], v[24:25], s[26:27], v[64:65]
	v_fma_f64 v[64:65], v[26:27], s[26:27], -v[66:67]
	v_fma_f64 v[66:67], v[20:21], s[42:43], v[162:163]
	v_mul_f64_e32 v[162:163], s[46:47], v[38:39]
	s_delay_alu instid0(VALU_DEP_4) | instskip(NEXT) | instid1(VALU_DEP_4)
	v_add_f64_e32 v[60:61], v[60:61], v[90:91]
	v_add_f64_e32 v[64:65], v[64:65], v[88:89]
	s_delay_alu instid0(VALU_DEP_2) | instskip(SKIP_2) | instid1(VALU_DEP_2)
	v_add_f64_e32 v[60:61], v[66:67], v[60:61]
	v_fma_f64 v[66:67], v[22:23], s[42:43], -v[164:165]
	v_mul_f64_e32 v[164:165], s[46:47], v[36:37]
	v_add_f64_e32 v[64:65], v[66:67], v[64:65]
	v_fma_f64 v[66:67], v[16:17], s[16:17], v[166:167]
	v_mul_f64_e32 v[166:167], s[48:49], v[138:139]
	s_delay_alu instid0(VALU_DEP_2) | instskip(SKIP_2) | instid1(VALU_DEP_2)
	v_add_f64_e32 v[60:61], v[66:67], v[60:61]
	v_fma_f64 v[66:67], v[18:19], s[16:17], -v[168:169]
	v_mul_f64_e32 v[168:169], s[48:49], v[136:137]
	v_add_f64_e32 v[64:65], v[66:67], v[64:65]
	v_fma_f64 v[66:67], v[12:13], s[24:25], v[170:171]
	v_mul_f64_e32 v[170:171], s[30:31], v[134:135]
	;; [unrolled: 7-line block ×5, first 2 shown]
	s_delay_alu instid0(VALU_DEP_3) | instskip(NEXT) | instid1(VALU_DEP_3)
	v_add_f64_e32 v[90:91], v[62:63], v[64:65]
	v_add_f64_e32 v[88:89], v[66:67], v[60:61]
	v_mul_f64_e32 v[60:61], s[40:41], v[142:143]
	v_mul_f64_e32 v[64:65], s[40:41], v[140:141]
	s_delay_alu instid0(VALU_DEP_2) | instskip(NEXT) | instid1(VALU_DEP_2)
	v_fma_f64 v[62:63], v[24:25], s[42:43], -v[60:61]
	v_fma_f64 v[66:67], v[26:27], s[42:43], v[64:65]
	v_fma_f64 v[60:61], v[24:25], s[42:43], v[60:61]
	v_fma_f64 v[64:65], v[26:27], s[42:43], -v[64:65]
	s_delay_alu instid0(VALU_DEP_4) | instskip(NEXT) | instid1(VALU_DEP_4)
	v_add_f64_e32 v[62:63], v[62:63], v[94:95]
	v_add_f64_e32 v[66:67], v[66:67], v[92:93]
	v_fma_f64 v[92:93], v[20:21], s[16:17], -v[162:163]
	v_add_f64_e32 v[60:61], v[60:61], v[98:99]
	v_add_f64_e32 v[64:65], v[64:65], v[96:97]
	s_delay_alu instid0(VALU_DEP_3) | instskip(SKIP_1) | instid1(VALU_DEP_1)
	v_add_f64_e32 v[62:63], v[92:93], v[62:63]
	v_fma_f64 v[92:93], v[22:23], s[16:17], v[164:165]
	v_add_f64_e32 v[66:67], v[92:93], v[66:67]
	v_fma_f64 v[92:93], v[16:17], s[28:29], -v[166:167]
	s_delay_alu instid0(VALU_DEP_1) | instskip(SKIP_1) | instid1(VALU_DEP_1)
	v_add_f64_e32 v[62:63], v[92:93], v[62:63]
	v_fma_f64 v[92:93], v[18:19], s[28:29], v[168:169]
	v_add_f64_e32 v[66:67], v[92:93], v[66:67]
	v_fma_f64 v[92:93], v[12:13], s[20:21], -v[170:171]
	s_delay_alu instid0(VALU_DEP_1) | instskip(SKIP_1) | instid1(VALU_DEP_1)
	;; [unrolled: 5-line block ×5, first 2 shown]
	v_add_f64_e32 v[92:93], v[92:93], v[62:63]
	v_mul_f64_e32 v[62:63], s[52:53], v[110:111]
	v_fma_f64 v[94:95], v[2:3], s[24:25], v[62:63]
	v_fma_f64 v[62:63], v[2:3], s[24:25], -v[62:63]
	s_delay_alu instid0(VALU_DEP_2) | instskip(SKIP_1) | instid1(VALU_DEP_1)
	v_add_f64_e32 v[94:95], v[94:95], v[66:67]
	v_fma_f64 v[66:67], v[20:21], s[16:17], v[162:163]
	v_add_f64_e32 v[60:61], v[66:67], v[60:61]
	v_fma_f64 v[66:67], v[22:23], s[16:17], -v[164:165]
	s_delay_alu instid0(VALU_DEP_1) | instskip(SKIP_1) | instid1(VALU_DEP_1)
	v_add_f64_e32 v[64:65], v[66:67], v[64:65]
	v_fma_f64 v[66:67], v[16:17], s[28:29], v[166:167]
	v_add_f64_e32 v[60:61], v[66:67], v[60:61]
	v_fma_f64 v[66:67], v[18:19], s[28:29], -v[168:169]
	s_delay_alu instid0(VALU_DEP_1) | instskip(SKIP_1) | instid1(VALU_DEP_1)
	v_add_f64_e32 v[64:65], v[66:67], v[64:65]
	v_fma_f64 v[66:67], v[12:13], s[20:21], v[170:171]
	v_add_f64_e32 v[60:61], v[66:67], v[60:61]
	v_fma_f64 v[66:67], v[14:15], s[20:21], -v[172:173]
	s_delay_alu instid0(VALU_DEP_1) | instskip(SKIP_1) | instid1(VALU_DEP_1)
	v_add_f64_e32 v[64:65], v[66:67], v[64:65]
	v_fma_f64 v[66:67], v[8:9], s[34:35], v[174:175]
	v_add_f64_e32 v[60:61], v[66:67], v[60:61]
	v_fma_f64 v[66:67], v[10:11], s[34:35], -v[176:177]
	s_delay_alu instid0(VALU_DEP_1) | instskip(SKIP_1) | instid1(VALU_DEP_1)
	v_add_f64_e32 v[64:65], v[66:67], v[64:65]
	v_fma_f64 v[66:67], v[4:5], s[26:27], v[178:179]
	v_add_f64_e32 v[60:61], v[66:67], v[60:61]
	v_fma_f64 v[66:67], v[6:7], s[26:27], -v[181:182]
	v_mul_f64_e32 v[181:182], s[12:13], v[122:123]
	s_delay_alu instid0(VALU_DEP_2) | instskip(SKIP_2) | instid1(VALU_DEP_3)
	v_add_f64_e32 v[64:65], v[66:67], v[64:65]
	v_fma_f64 v[66:67], v[0:1], s[24:25], v[183:184]
	v_mul_f64_e32 v[183:184], s[12:13], v[110:111]
	v_add_f64_e32 v[98:99], v[62:63], v[64:65]
	s_delay_alu instid0(VALU_DEP_3) | instskip(SKIP_1) | instid1(VALU_DEP_1)
	v_add_f64_e32 v[96:97], v[66:67], v[60:61]
	v_mul_f64_e32 v[60:61], s[50:51], v[142:143]
	v_fma_f64 v[62:63], v[24:25], s[34:35], -v[60:61]
	v_fma_f64 v[60:61], v[24:25], s[34:35], v[60:61]
	s_delay_alu instid0(VALU_DEP_2) | instskip(SKIP_1) | instid1(VALU_DEP_3)
	v_add_f64_e32 v[58:59], v[62:63], v[58:59]
	v_mul_f64_e32 v[62:63], s[50:51], v[140:141]
	v_add_f64_e32 v[60:61], v[60:61], v[154:155]
	s_delay_alu instid0(VALU_DEP_2) | instskip(SKIP_1) | instid1(VALU_DEP_2)
	v_fma_f64 v[64:65], v[26:27], s[34:35], v[62:63]
	v_fma_f64 v[62:63], v[26:27], s[34:35], -v[62:63]
	v_add_f64_e32 v[56:57], v[64:65], v[56:57]
	v_mul_f64_e32 v[64:65], s[52:53], v[38:39]
	s_delay_alu instid0(VALU_DEP_3) | instskip(SKIP_1) | instid1(VALU_DEP_3)
	v_add_f64_e32 v[62:63], v[62:63], v[152:153]
	v_mul_f64_e32 v[152:153], s[46:47], v[142:143]
	v_fma_f64 v[66:67], v[20:21], s[24:25], -v[64:65]
	v_fma_f64 v[64:65], v[20:21], s[24:25], v[64:65]
	s_delay_alu instid0(VALU_DEP_2) | instskip(SKIP_1) | instid1(VALU_DEP_3)
	v_add_f64_e32 v[58:59], v[66:67], v[58:59]
	v_mul_f64_e32 v[66:67], s[52:53], v[36:37]
	v_add_f64_e32 v[60:61], v[64:65], v[60:61]
	s_delay_alu instid0(VALU_DEP_2) | instskip(SKIP_2) | instid1(VALU_DEP_3)
	v_fma_f64 v[162:163], v[22:23], s[24:25], v[66:67]
	v_fma_f64 v[64:65], v[22:23], s[24:25], -v[66:67]
	v_fma_f64 v[66:67], v[2:3], s[26:27], -v[183:184]
	v_add_f64_e32 v[56:57], v[162:163], v[56:57]
	v_mul_f64_e32 v[162:163], s[30:31], v[138:139]
	s_delay_alu instid0(VALU_DEP_4) | instskip(NEXT) | instid1(VALU_DEP_2)
	v_add_f64_e32 v[62:63], v[64:65], v[62:63]
	v_fma_f64 v[164:165], v[16:17], s[20:21], -v[162:163]
	v_fma_f64 v[64:65], v[16:17], s[20:21], v[162:163]
	s_delay_alu instid0(VALU_DEP_2) | instskip(SKIP_1) | instid1(VALU_DEP_3)
	v_add_f64_e32 v[58:59], v[164:165], v[58:59]
	v_mul_f64_e32 v[164:165], s[30:31], v[136:137]
	v_add_f64_e32 v[60:61], v[64:65], v[60:61]
	s_delay_alu instid0(VALU_DEP_2) | instskip(SKIP_1) | instid1(VALU_DEP_2)
	v_fma_f64 v[166:167], v[18:19], s[20:21], v[164:165]
	v_fma_f64 v[64:65], v[18:19], s[20:21], -v[164:165]
	v_add_f64_e32 v[56:57], v[166:167], v[56:57]
	v_mul_f64_e32 v[166:167], s[40:41], v[134:135]
	s_delay_alu instid0(VALU_DEP_3) | instskip(NEXT) | instid1(VALU_DEP_2)
	v_add_f64_e32 v[62:63], v[64:65], v[62:63]
	v_fma_f64 v[168:169], v[12:13], s[42:43], -v[166:167]
	v_fma_f64 v[64:65], v[12:13], s[42:43], v[166:167]
	s_delay_alu instid0(VALU_DEP_2) | instskip(SKIP_1) | instid1(VALU_DEP_3)
	v_add_f64_e32 v[58:59], v[168:169], v[58:59]
	v_mul_f64_e32 v[168:169], s[40:41], v[132:133]
	v_add_f64_e32 v[60:61], v[64:65], v[60:61]
	s_delay_alu instid0(VALU_DEP_2) | instskip(SKIP_1) | instid1(VALU_DEP_2)
	v_fma_f64 v[170:171], v[14:15], s[42:43], v[168:169]
	v_fma_f64 v[64:65], v[14:15], s[42:43], -v[168:169]
	v_add_f64_e32 v[56:57], v[170:171], v[56:57]
	v_mul_f64_e32 v[170:171], s[58:59], v[130:131]
	s_delay_alu instid0(VALU_DEP_3) | instskip(NEXT) | instid1(VALU_DEP_2)
	;; [unrolled: 13-line block ×3, first 2 shown]
	v_add_f64_e32 v[62:63], v[64:65], v[62:63]
	v_fma_f64 v[176:177], v[4:5], s[28:29], -v[174:175]
	v_fma_f64 v[64:65], v[4:5], s[28:29], v[174:175]
	s_delay_alu instid0(VALU_DEP_2) | instskip(SKIP_1) | instid1(VALU_DEP_3)
	v_add_f64_e32 v[58:59], v[176:177], v[58:59]
	v_mul_f64_e32 v[176:177], s[38:39], v[124:125]
	v_add_f64_e32 v[60:61], v[64:65], v[60:61]
	s_delay_alu instid0(VALU_DEP_2) | instskip(SKIP_1) | instid1(VALU_DEP_2)
	v_fma_f64 v[64:65], v[6:7], s[28:29], -v[176:177]
	v_fma_f64 v[178:179], v[6:7], s[28:29], v[176:177]
	v_add_f64_e32 v[62:63], v[64:65], v[62:63]
	v_fma_f64 v[64:65], v[0:1], s[26:27], v[181:182]
	s_delay_alu instid0(VALU_DEP_3) | instskip(SKIP_1) | instid1(VALU_DEP_4)
	v_add_f64_e32 v[178:179], v[178:179], v[56:57]
	v_fma_f64 v[56:57], v[0:1], s[26:27], -v[181:182]
	v_add_f64_e32 v[62:63], v[66:67], v[62:63]
	s_delay_alu instid0(VALU_DEP_4) | instskip(SKIP_4) | instid1(VALU_DEP_4)
	v_add_f64_e32 v[60:61], v[64:65], v[60:61]
	v_fma_f64 v[64:65], v[24:25], s[16:17], -v[152:153]
	v_fma_f64 v[152:153], v[24:25], s[16:17], v[152:153]
	v_add_f64_e32 v[56:57], v[56:57], v[58:59]
	v_fma_f64 v[58:59], v[2:3], s[26:27], v[183:184]
	v_add_f64_e32 v[64:65], v[64:65], v[150:151]
	v_mul_f64_e32 v[150:151], s[46:47], v[140:141]
	v_add_f64_e32 v[54:55], v[152:153], v[54:55]
	s_delay_alu instid0(VALU_DEP_4) | instskip(NEXT) | instid1(VALU_DEP_3)
	v_add_f64_e32 v[58:59], v[58:59], v[178:179]
	v_fma_f64 v[66:67], v[26:27], s[16:17], v[150:151]
	v_fma_f64 v[150:151], v[26:27], s[16:17], -v[150:151]
	s_delay_alu instid0(VALU_DEP_2) | instskip(SKIP_1) | instid1(VALU_DEP_3)
	v_add_f64_e32 v[66:67], v[66:67], v[148:149]
	v_mul_f64_e32 v[148:149], s[38:39], v[38:39]
	v_add_f64_e32 v[52:53], v[150:151], v[52:53]
	s_delay_alu instid0(VALU_DEP_2) | instskip(SKIP_1) | instid1(VALU_DEP_2)
	v_fma_f64 v[154:155], v[20:21], s[28:29], -v[148:149]
	v_fma_f64 v[148:149], v[20:21], s[28:29], v[148:149]
	v_add_f64_e32 v[64:65], v[154:155], v[64:65]
	v_mul_f64_e32 v[154:155], s[38:39], v[36:37]
	s_delay_alu instid0(VALU_DEP_3) | instskip(NEXT) | instid1(VALU_DEP_2)
	v_add_f64_e32 v[54:55], v[148:149], v[54:55]
	v_fma_f64 v[162:163], v[22:23], s[28:29], v[154:155]
	v_fma_f64 v[148:149], v[22:23], s[28:29], -v[154:155]
	s_delay_alu instid0(VALU_DEP_2) | instskip(SKIP_1) | instid1(VALU_DEP_3)
	v_add_f64_e32 v[66:67], v[162:163], v[66:67]
	v_mul_f64_e32 v[162:163], s[18:19], v[138:139]
	v_add_f64_e32 v[52:53], v[148:149], v[52:53]
	s_delay_alu instid0(VALU_DEP_2) | instskip(SKIP_1) | instid1(VALU_DEP_2)
	v_fma_f64 v[164:165], v[16:17], s[34:35], -v[162:163]
	v_fma_f64 v[148:149], v[16:17], s[34:35], v[162:163]
	v_add_f64_e32 v[64:65], v[164:165], v[64:65]
	v_mul_f64_e32 v[164:165], s[18:19], v[136:137]
	s_delay_alu instid0(VALU_DEP_3) | instskip(NEXT) | instid1(VALU_DEP_2)
	;; [unrolled: 13-line block ×6, first 2 shown]
	v_add_f64_e32 v[52:53], v[52:53], v[54:55]
	v_fma_f64 v[150:151], v[2:3], s[20:21], -v[181:182]
	v_fma_f64 v[183:184], v[2:3], s[20:21], v[181:182]
	v_mul_f64_e32 v[181:182], s[2:3], v[122:123]
	v_mul_f64_e32 v[122:123], s[58:59], v[122:123]
	s_delay_alu instid0(VALU_DEP_4)
	v_add_f64_e32 v[54:55], v[150:151], v[148:149]
	v_mul_f64_e32 v[148:149], s[44:45], v[142:143]
	v_add_f64_e32 v[66:67], v[183:184], v[66:67]
	v_mul_f64_e32 v[183:184], s[2:3], v[110:111]
	v_mul_f64_e32 v[142:143], s[48:49], v[142:143]
	;; [unrolled: 1-line block ×3, first 2 shown]
	v_fma_f64 v[150:151], v[24:25], s[20:21], -v[148:149]
	v_fma_f64 v[148:149], v[24:25], s[20:21], v[148:149]
	s_delay_alu instid0(VALU_DEP_2) | instskip(SKIP_1) | instid1(VALU_DEP_3)
	v_add_f64_e32 v[50:51], v[150:151], v[50:51]
	v_mul_f64_e32 v[150:151], s[44:45], v[140:141]
	v_add_f64_e32 v[46:47], v[148:149], v[46:47]
	v_mul_f64_e32 v[140:141], s[48:49], v[140:141]
	s_delay_alu instid0(VALU_DEP_3) | instskip(SKIP_2) | instid1(VALU_DEP_3)
	v_fma_f64 v[152:153], v[26:27], s[20:21], v[150:151]
	v_fma_f64 v[148:149], v[26:27], s[20:21], -v[150:151]
	v_fma_f64 v[150:151], v[2:3], s[16:17], -v[183:184]
	v_add_f64_e32 v[48:49], v[152:153], v[48:49]
	v_mul_f64_e32 v[152:153], s[22:23], v[38:39]
	s_delay_alu instid0(VALU_DEP_4) | instskip(NEXT) | instid1(VALU_DEP_2)
	v_add_f64_e32 v[44:45], v[148:149], v[44:45]
	v_fma_f64 v[154:155], v[20:21], s[14:15], -v[152:153]
	v_fma_f64 v[148:149], v[20:21], s[14:15], v[152:153]
	s_delay_alu instid0(VALU_DEP_2) | instskip(SKIP_1) | instid1(VALU_DEP_3)
	v_add_f64_e32 v[50:51], v[154:155], v[50:51]
	v_mul_f64_e32 v[154:155], s[22:23], v[36:37]
	v_add_f64_e32 v[46:47], v[148:149], v[46:47]
	s_delay_alu instid0(VALU_DEP_2) | instskip(SKIP_1) | instid1(VALU_DEP_2)
	v_fma_f64 v[162:163], v[22:23], s[14:15], v[154:155]
	v_fma_f64 v[148:149], v[22:23], s[14:15], -v[154:155]
	v_add_f64_e32 v[48:49], v[162:163], v[48:49]
	v_mul_f64_e32 v[162:163], s[56:57], v[138:139]
	s_delay_alu instid0(VALU_DEP_3) | instskip(NEXT) | instid1(VALU_DEP_2)
	v_add_f64_e32 v[44:45], v[148:149], v[44:45]
	v_fma_f64 v[164:165], v[16:17], s[26:27], -v[162:163]
	v_fma_f64 v[148:149], v[16:17], s[26:27], v[162:163]
	s_delay_alu instid0(VALU_DEP_2) | instskip(SKIP_1) | instid1(VALU_DEP_3)
	v_add_f64_e32 v[50:51], v[164:165], v[50:51]
	v_mul_f64_e32 v[164:165], s[56:57], v[136:137]
	v_add_f64_e32 v[46:47], v[148:149], v[46:47]
	v_mul_f64_e32 v[136:137], s[52:53], v[136:137]
	s_delay_alu instid0(VALU_DEP_3) | instskip(SKIP_1) | instid1(VALU_DEP_2)
	v_fma_f64 v[166:167], v[18:19], s[26:27], v[164:165]
	v_fma_f64 v[148:149], v[18:19], s[26:27], -v[164:165]
	v_add_f64_e32 v[48:49], v[166:167], v[48:49]
	v_mul_f64_e32 v[166:167], s[38:39], v[134:135]
	s_delay_alu instid0(VALU_DEP_3) | instskip(SKIP_1) | instid1(VALU_DEP_3)
	v_add_f64_e32 v[44:45], v[148:149], v[44:45]
	v_mul_f64_e32 v[134:135], s[12:13], v[134:135]
	v_fma_f64 v[168:169], v[12:13], s[28:29], -v[166:167]
	v_fma_f64 v[148:149], v[12:13], s[28:29], v[166:167]
	s_delay_alu instid0(VALU_DEP_2) | instskip(SKIP_1) | instid1(VALU_DEP_3)
	v_add_f64_e32 v[50:51], v[168:169], v[50:51]
	v_mul_f64_e32 v[168:169], s[38:39], v[132:133]
	v_add_f64_e32 v[46:47], v[148:149], v[46:47]
	v_mul_f64_e32 v[132:133], s[12:13], v[132:133]
	s_delay_alu instid0(VALU_DEP_3) | instskip(SKIP_1) | instid1(VALU_DEP_2)
	v_fma_f64 v[170:171], v[14:15], s[28:29], v[168:169]
	v_fma_f64 v[148:149], v[14:15], s[28:29], -v[168:169]
	v_add_f64_e32 v[48:49], v[170:171], v[48:49]
	v_mul_f64_e32 v[170:171], s[40:41], v[130:131]
	s_delay_alu instid0(VALU_DEP_3) | instskip(SKIP_1) | instid1(VALU_DEP_3)
	v_add_f64_e32 v[44:45], v[148:149], v[44:45]
	v_mul_f64_e32 v[130:131], s[44:45], v[130:131]
	;; [unrolled: 15-line block ×3, first 2 shown]
	v_fma_f64 v[176:177], v[4:5], s[24:25], -v[174:175]
	v_fma_f64 v[148:149], v[4:5], s[24:25], v[174:175]
	s_delay_alu instid0(VALU_DEP_2) | instskip(SKIP_1) | instid1(VALU_DEP_3)
	v_add_f64_e32 v[50:51], v[176:177], v[50:51]
	v_mul_f64_e32 v[176:177], s[52:53], v[124:125]
	v_add_f64_e32 v[46:47], v[148:149], v[46:47]
	v_mul_f64_e32 v[124:125], s[2:3], v[124:125]
	s_delay_alu instid0(VALU_DEP_3) | instskip(SKIP_1) | instid1(VALU_DEP_2)
	v_fma_f64 v[148:149], v[6:7], s[24:25], -v[176:177]
	v_fma_f64 v[178:179], v[6:7], s[24:25], v[176:177]
	v_add_f64_e32 v[148:149], v[148:149], v[44:45]
	v_fma_f64 v[44:45], v[0:1], s[16:17], v[181:182]
	s_delay_alu instid0(VALU_DEP_3) | instskip(SKIP_1) | instid1(VALU_DEP_3)
	v_add_f64_e32 v[178:179], v[178:179], v[48:49]
	v_fma_f64 v[48:49], v[0:1], s[16:17], -v[181:182]
	v_add_f64_e32 v[44:45], v[44:45], v[46:47]
	v_add_f64_e32 v[46:47], v[150:151], v[148:149]
	v_fma_f64 v[148:149], v[24:25], s[28:29], -v[142:143]
	s_delay_alu instid0(VALU_DEP_4) | instskip(SKIP_1) | instid1(VALU_DEP_3)
	v_add_f64_e32 v[48:49], v[48:49], v[50:51]
	v_fma_f64 v[50:51], v[2:3], s[16:17], v[183:184]
	v_add_f64_e32 v[42:43], v[148:149], v[42:43]
	v_fma_f64 v[148:149], v[26:27], s[28:29], v[140:141]
	v_fma_f64 v[140:141], v[26:27], s[28:29], -v[140:141]
	v_fma_f64 v[26:27], v[26:27], s[24:25], -v[34:35]
	v_add_f64_e32 v[50:51], v[50:51], v[178:179]
	s_delay_alu instid0(VALU_DEP_4) | instskip(SKIP_3) | instid1(VALU_DEP_3)
	v_add_f64_e32 v[40:41], v[148:149], v[40:41]
	v_mul_f64_e32 v[148:149], s[18:19], v[38:39]
	v_add_f64_e32 v[140:141], v[140:141], v[144:145]
	v_add_f64_e32 v[26:27], v[26:27], v[30:31]
	v_fma_f64 v[38:39], v[20:21], s[34:35], -v[148:149]
	s_delay_alu instid0(VALU_DEP_1) | instskip(SKIP_1) | instid1(VALU_DEP_1)
	v_add_f64_e32 v[38:39], v[38:39], v[42:43]
	v_mul_f64_e32 v[42:43], s[18:19], v[36:37]
	v_fma_f64 v[36:37], v[22:23], s[34:35], v[42:43]
	v_fma_f64 v[42:43], v[22:23], s[34:35], -v[42:43]
	v_fma_f64 v[22:23], v[22:23], s[20:21], -v[102:103]
	s_delay_alu instid0(VALU_DEP_3) | instskip(SKIP_1) | instid1(VALU_DEP_4)
	v_add_f64_e32 v[36:37], v[36:37], v[40:41]
	v_mul_f64_e32 v[40:41], s[52:53], v[138:139]
	v_add_f64_e32 v[42:43], v[42:43], v[140:141]
	s_delay_alu instid0(VALU_DEP_4) | instskip(NEXT) | instid1(VALU_DEP_3)
	v_add_f64_e32 v[22:23], v[22:23], v[26:27]
	v_fma_f64 v[138:139], v[16:17], s[24:25], -v[40:41]
	v_fma_f64 v[40:41], v[16:17], s[24:25], v[40:41]
	v_fma_f64 v[16:17], v[16:17], s[14:15], v[104:105]
	s_delay_alu instid0(VALU_DEP_3) | instskip(SKIP_3) | instid1(VALU_DEP_3)
	v_add_f64_e32 v[38:39], v[138:139], v[38:39]
	v_fma_f64 v[138:139], v[18:19], s[24:25], v[136:137]
	v_fma_f64 v[136:137], v[18:19], s[24:25], -v[136:137]
	v_fma_f64 v[18:19], v[18:19], s[14:15], -v[106:107]
	v_add_f64_e32 v[36:37], v[138:139], v[36:37]
	v_fma_f64 v[138:139], v[12:13], s[26:27], -v[134:135]
	s_delay_alu instid0(VALU_DEP_4)
	v_add_f64_e32 v[42:43], v[136:137], v[42:43]
	v_fma_f64 v[134:135], v[12:13], s[26:27], v[134:135]
	v_fma_f64 v[12:13], v[12:13], s[16:17], v[108:109]
	v_add_f64_e32 v[18:19], v[18:19], v[22:23]
	v_add_f64_e32 v[38:39], v[138:139], v[38:39]
	v_fma_f64 v[138:139], v[14:15], s[26:27], v[132:133]
	v_fma_f64 v[132:133], v[14:15], s[26:27], -v[132:133]
	v_fma_f64 v[14:15], v[14:15], s[16:17], -v[112:113]
	s_delay_alu instid0(VALU_DEP_3) | instskip(SKIP_1) | instid1(VALU_DEP_4)
	v_add_f64_e32 v[36:37], v[138:139], v[36:37]
	v_fma_f64 v[138:139], v[8:9], s[20:21], -v[130:131]
	v_add_f64_e32 v[42:43], v[132:133], v[42:43]
	v_fma_f64 v[130:131], v[8:9], s[20:21], v[130:131]
	v_fma_f64 v[8:9], v[8:9], s[26:27], v[114:115]
	v_add_f64_e32 v[14:15], v[14:15], v[18:19]
	v_add_f64_e32 v[38:39], v[138:139], v[38:39]
	v_fma_f64 v[138:139], v[10:11], s[20:21], v[128:129]
	v_fma_f64 v[128:129], v[10:11], s[20:21], -v[128:129]
	v_fma_f64 v[10:11], v[10:11], s[26:27], -v[116:117]
	s_delay_alu instid0(VALU_DEP_3) | instskip(SKIP_1) | instid1(VALU_DEP_4)
	v_add_f64_e32 v[36:37], v[138:139], v[36:37]
	v_fma_f64 v[138:139], v[4:5], s[16:17], -v[126:127]
	;; [unrolled: 11-line block ×3, first 2 shown]
	v_add_f64_e32 v[42:43], v[124:125], v[42:43]
	v_fma_f64 v[122:123], v[0:1], s[14:15], v[122:123]
	v_fma_f64 v[0:1], v[0:1], s[42:43], v[156:157]
	v_add_f64_e32 v[6:7], v[6:7], v[10:11]
	v_lshlrev_b32_e32 v10, 8, v185
	v_add_f64_e32 v[36:37], v[36:37], v[38:39]
	v_fma_f64 v[38:39], v[2:3], s[14:15], v[110:111]
	v_fma_f64 v[110:111], v[2:3], s[14:15], -v[110:111]
	v_fma_f64 v[2:3], v[2:3], s[42:43], -v[158:159]
	s_delay_alu instid0(VALU_DEP_3)
	v_add_f64_e32 v[38:39], v[38:39], v[138:139]
	v_fma_f64 v[138:139], v[24:25], s[28:29], v[142:143]
	v_fma_f64 v[24:25], v[24:25], s[24:25], v[32:33]
	;; [unrolled: 1-line block ×4, first 2 shown]
	v_add_f64_e32 v[42:43], v[110:111], v[42:43]
	v_add_f64_e32 v[2:3], v[2:3], v[6:7]
	;; [unrolled: 1-line block ×4, first 2 shown]
	s_delay_alu instid0(VALU_DEP_2) | instskip(NEXT) | instid1(VALU_DEP_2)
	v_add_f64_e32 v[138:139], v[142:143], v[138:139]
	v_add_f64_e32 v[20:21], v[20:21], v[24:25]
	s_delay_alu instid0(VALU_DEP_2) | instskip(NEXT) | instid1(VALU_DEP_2)
	v_add_f64_e32 v[40:41], v[40:41], v[138:139]
	v_add_f64_e32 v[16:17], v[16:17], v[20:21]
	;; [unrolled: 3-line block ×6, first 2 shown]
	v_mul_lo_u16 v4, v160, 17
	s_delay_alu instid0(VALU_DEP_1) | instskip(NEXT) | instid1(VALU_DEP_1)
	v_and_b32_e32 v4, 0xffff, v4
	v_lshl_add_u32 v255, v4, 4, v161
	ds_store_b128 v255, v[68:71] offset:16
	ds_store_b128 v255, v[76:79] offset:32
	;; [unrolled: 1-line block ×16, first 2 shown]
	ds_store_b128 v255, v[72:75]
	global_wb scope:SCOPE_SE
	s_wait_dscnt 0x0
	s_barrier_signal -1
	s_barrier_wait -1
	global_inv scope:SCOPE_SE
	s_clause 0x3
	global_load_b128 v[233:236], v10, s[10:11]
	global_load_b128 v[237:240], v10, s[10:11] offset:16
	global_load_b128 v[225:228], v10, s[10:11] offset:32
	;; [unrolled: 1-line block ×3, first 2 shown]
	ds_load_b128 v[2:5], v180 offset:272
	s_clause 0xb
	global_load_b128 v[84:87], v10, s[10:11] offset:64
	global_load_b128 v[88:91], v10, s[10:11] offset:80
	;; [unrolled: 1-line block ×12, first 2 shown]
	s_wait_loadcnt_dscnt 0xf00
	v_mul_f64_e32 v[0:1], v[4:5], v[235:236]
	s_delay_alu instid0(VALU_DEP_1) | instskip(SKIP_1) | instid1(VALU_DEP_1)
	v_fma_f64 v[0:1], v[2:3], v[233:234], -v[0:1]
	v_mul_f64_e32 v[2:3], v[2:3], v[235:236]
	v_fma_f64 v[2:3], v[4:5], v[233:234], v[2:3]
	ds_load_b128 v[4:7], v180 offset:544
	s_wait_loadcnt_dscnt 0xe00
	v_mul_f64_e32 v[8:9], v[6:7], v[239:240]
	s_delay_alu instid0(VALU_DEP_1) | instskip(SKIP_1) | instid1(VALU_DEP_1)
	v_fma_f64 v[68:69], v[4:5], v[237:238], -v[8:9]
	v_mul_f64_e32 v[4:5], v[4:5], v[239:240]
	v_fma_f64 v[70:71], v[6:7], v[237:238], v[4:5]
	ds_load_b128 v[4:7], v180 offset:816
	;; [unrolled: 7-line block ×14, first 2 shown]
	s_wait_loadcnt_dscnt 0x100
	v_mul_f64_e32 v[8:9], v[6:7], v[130:131]
	s_delay_alu instid0(VALU_DEP_1) | instskip(SKIP_1) | instid1(VALU_DEP_2)
	v_fma_f64 v[187:188], v[4:5], v[128:129], -v[8:9]
	v_mul_f64_e32 v[4:5], v[4:5], v[130:131]
	v_add_f64_e32 v[249:250], v[68:69], v[187:188]
	s_delay_alu instid0(VALU_DEP_2)
	v_fma_f64 v[185:186], v[6:7], v[128:129], v[4:5]
	ds_load_b128 v[4:7], v180 offset:4352
	v_add_f64_e64 v[72:73], v[68:69], -v[187:188]
	s_wait_loadcnt_dscnt 0x0
	v_mul_f64_e32 v[8:9], v[4:5], v[118:119]
	v_add_f64_e64 v[78:79], v[70:71], -v[185:186]
	v_add_f64_e32 v[251:252], v[70:71], v[185:186]
	s_delay_alu instid0(VALU_DEP_4) | instskip(NEXT) | instid1(VALU_DEP_4)
	v_mul_f64_e32 v[74:75], s[36:37], v[72:73]
	v_fma_f64 v[183:184], v[6:7], v[116:117], v[8:9]
	v_mul_f64_e32 v[6:7], v[6:7], v[118:119]
	v_mul_f64_e32 v[76:77], s[36:37], v[78:79]
	s_delay_alu instid0(VALU_DEP_3) | instskip(NEXT) | instid1(VALU_DEP_3)
	v_add_f64_e32 v[52:53], v[2:3], v[183:184]
	v_fma_f64 v[181:182], v[4:5], v[116:117], -v[6:7]
	v_add_f64_e64 v[4:5], v[2:3], -v[183:184]
	s_delay_alu instid0(VALU_DEP_2) | instskip(NEXT) | instid1(VALU_DEP_2)
	v_add_f64_e32 v[20:21], v[0:1], v[181:182]
	v_mul_f64_e32 v[6:7], s[38:39], v[4:5]
	v_mul_f64_e32 v[8:9], s[36:37], v[4:5]
	;; [unrolled: 1-line block ×8, first 2 shown]
	v_fma_f64 v[22:23], v[20:21], s[28:29], -v[6:7]
	v_fma_f64 v[24:25], v[20:21], s[28:29], v[6:7]
	v_fma_f64 v[26:27], v[20:21], s[24:25], -v[8:9]
	v_fma_f64 v[8:9], v[20:21], s[24:25], v[8:9]
	;; [unrolled: 2-line block ×8, first 2 shown]
	v_add_f64_e64 v[4:5], v[0:1], -v[181:182]
	s_delay_alu instid0(VALU_DEP_1)
	v_mul_f64_e32 v[6:7], s[38:39], v[4:5]
	v_mul_f64_e32 v[40:41], s[36:37], v[4:5]
	;; [unrolled: 1-line block ×8, first 2 shown]
	v_fma_f64 v[54:55], v[52:53], s[28:29], v[6:7]
	v_fma_f64 v[56:57], v[52:53], s[28:29], -v[6:7]
	v_fma_f64 v[58:59], v[52:53], s[24:25], v[40:41]
	v_fma_f64 v[40:41], v[52:53], s[24:25], -v[40:41]
	;; [unrolled: 2-line block ×8, first 2 shown]
	ds_load_b128 v[4:7], v180
	s_wait_dscnt 0x0
	v_add_f64_e32 v[142:143], v[4:5], v[8:9]
	v_add_f64_e32 v[8:9], v[4:5], v[16:17]
	;; [unrolled: 1-line block ×17, first 2 shown]
	v_add_f64_e64 v[64:65], v[247:248], -v[189:190]
	v_add_f64_e32 v[134:135], v[6:7], v[56:57]
	v_add_f64_e32 v[160:161], v[6:7], v[62:63]
	;; [unrolled: 1-line block ×3, first 2 shown]
	v_add_f64_e64 v[62:63], v[245:246], -v[191:192]
	v_add_f64_e32 v[140:141], v[6:7], v[40:41]
	v_add_f64_e32 v[164:165], v[6:7], v[44:45]
	;; [unrolled: 1-line block ×3, first 2 shown]
	v_add_f64_e64 v[44:45], v[148:149], -v[221:222]
	v_add_f64_e64 v[40:41], v[199:200], -v[219:220]
	v_add_f64_e32 v[178:179], v[6:7], v[66:67]
	v_add_f64_e32 v[12:13], v[197:198], v[217:218]
	v_add_f64_e64 v[34:35], v[203:204], -v[215:216]
	v_add_f64_e32 v[30:31], v[199:200], v[219:220]
	v_add_f64_e32 v[156:157], v[6:7], v[42:43]
	v_add_f64_e64 v[42:43], v[201:202], -v[213:214]
	v_add_f64_e32 v[172:173], v[6:7], v[46:47]
	v_add_f64_e64 v[32:33], v[205:206], -v[209:210]
	scratch_store_b64 off, v[8:9], off offset:396 ; 8-byte Folded Spill
	v_add_f64_e32 v[8:9], v[6:7], v[48:49]
	v_mul_f64_e32 v[56:57], s[22:23], v[64:65]
	v_mul_f64_e32 v[66:67], s[2:3], v[44:45]
	;; [unrolled: 1-line block ×3, first 2 shown]
	scratch_store_b64 off, v[8:9], off offset:388 ; 8-byte Folded Spill
	v_add_f64_e32 v[8:9], v[4:5], v[36:37]
	v_add_f64_e64 v[36:37], v[197:198], -v[217:218]
	scratch_store_b64 off, v[8:9], off offset:380 ; 8-byte Folded Spill
	v_add_f64_e32 v[8:9], v[6:7], v[136:137]
	scratch_store_b64 off, v[8:9], off offset:372 ; 8-byte Folded Spill
	v_add_f64_e32 v[8:9], v[4:5], v[18:19]
	v_mul_f64_e32 v[18:19], s[12:13], v[40:41]
	scratch_store_b64 off, v[8:9], off offset:332 ; 8-byte Folded Spill
	v_add_f64_e32 v[8:9], v[6:7], v[50:51]
	v_fma_f64 v[16:17], v[12:13], s[26:27], -v[18:19]
	v_add_f64_e64 v[50:51], v[207:208], -v[211:212]
	v_fma_f64 v[18:19], v[12:13], s[26:27], v[18:19]
	scratch_store_b64 off, v[8:9], off offset:324 ; 8-byte Folded Spill
	v_add_f64_e32 v[8:9], v[4:5], v[38:39]
	scratch_store_b64 off, v[8:9], off offset:316 ; 8-byte Folded Spill
	v_add_f64_e32 v[8:9], v[6:7], v[138:139]
	;; [unrolled: 2-line block ×3, first 2 shown]
	v_add_f64_e32 v[2:3], v[6:7], v[54:55]
	v_mul_f64_e32 v[54:55], s[22:23], v[62:63]
	scratch_store_b64 off, v[8:9], off offset:308 ; 8-byte Folded Spill
	v_add_f64_e32 v[8:9], v[201:202], v[213:214]
	scratch_store_b64 off, v[0:1], off offset:268 ; 8-byte Folded Spill
	v_add_f64_e32 v[0:1], v[4:5], v[22:23]
	v_add_f64_e32 v[4:5], v[4:5], v[20:21]
	;; [unrolled: 1-line block ×4, first 2 shown]
	v_fma_f64 v[38:39], v[8:9], s[34:35], -v[10:11]
	v_fma_f64 v[10:11], v[8:9], s[34:35], v[10:11]
	scratch_store_b64 off, v[4:5], off offset:292 ; 8-byte Folded Spill
	v_add_f64_e32 v[4:5], v[6:7], v[52:53]
	s_clause 0x1
	scratch_store_b64 off, v[4:5], off offset:300
	scratch_store_b64 off, v[70:71], off offset:284
	v_fma_f64 v[4:5], v[249:250], s[24:25], -v[76:77]
	v_add_f64_e64 v[70:71], v[193:194], -v[231:232]
	s_clause 0x1
	scratch_store_b64 off, v[68:69], off offset:276
	scratch_store_b64 off, v[176:177], off offset:340
	v_add_f64_e64 v[68:69], v[176:177], -v[229:230]
	v_add_f64_e64 v[52:53], v[195:196], -v[223:224]
	s_clause 0x1
	scratch_store_b64 off, v[247:248], off offset:364
	scratch_store_b64 off, v[148:149], off offset:404
	v_mul_f64_e32 v[247:248], s[12:13], v[36:37]
	v_fma_f64 v[76:77], v[249:250], s[24:25], v[76:77]
	v_mul_f64_e32 v[6:7], s[18:19], v[42:43]
	s_clause 0x1
	scratch_store_b64 off, v[193:194], off offset:348
	scratch_store_b64 off, v[245:246], off offset:356
	v_add_f64_e32 v[0:1], v[4:5], v[0:1]
	v_fma_f64 v[4:5], v[251:252], s[24:25], v[74:75]
	v_mul_f64_e32 v[60:61], s[30:31], v[70:71]
	v_fma_f64 v[74:75], v[251:252], s[24:25], -v[74:75]
	v_mul_f64_e32 v[58:59], s[30:31], v[68:69]
	v_mul_f64_e32 v[48:49], s[2:3], v[52:53]
	v_add_f64_e32 v[76:77], v[76:77], v[132:133]
	v_add_f64_e32 v[2:3], v[4:5], v[2:3]
	v_fma_f64 v[4:5], v[28:29], s[20:21], -v[60:61]
	v_fma_f64 v[60:61], v[28:29], s[20:21], v[60:61]
	v_add_f64_e32 v[74:75], v[74:75], v[134:135]
	s_delay_alu instid0(VALU_DEP_3) | instskip(SKIP_1) | instid1(VALU_DEP_4)
	v_add_f64_e32 v[0:1], v[4:5], v[0:1]
	v_fma_f64 v[4:5], v[26:27], s[20:21], v[58:59]
	v_add_f64_e32 v[60:61], v[60:61], v[76:77]
	v_fma_f64 v[58:59], v[26:27], s[20:21], -v[58:59]
	s_delay_alu instid0(VALU_DEP_3) | instskip(SKIP_2) | instid1(VALU_DEP_4)
	v_add_f64_e32 v[2:3], v[4:5], v[2:3]
	v_fma_f64 v[4:5], v[24:25], s[14:15], -v[56:57]
	v_fma_f64 v[56:57], v[24:25], s[14:15], v[56:57]
	v_add_f64_e32 v[58:59], v[58:59], v[74:75]
	s_delay_alu instid0(VALU_DEP_3) | instskip(SKIP_1) | instid1(VALU_DEP_4)
	v_add_f64_e32 v[0:1], v[4:5], v[0:1]
	v_fma_f64 v[4:5], v[20:21], s[14:15], v[54:55]
	v_add_f64_e32 v[56:57], v[56:57], v[60:61]
	v_fma_f64 v[54:55], v[20:21], s[14:15], -v[54:55]
	s_delay_alu instid0(VALU_DEP_3) | instskip(SKIP_2) | instid1(VALU_DEP_4)
	v_add_f64_e32 v[2:3], v[4:5], v[2:3]
	v_fma_f64 v[4:5], v[14:15], s[16:17], -v[48:49]
	v_fma_f64 v[48:49], v[14:15], s[16:17], v[48:49]
	v_add_f64_e32 v[54:55], v[54:55], v[58:59]
	s_delay_alu instid0(VALU_DEP_3) | instskip(SKIP_1) | instid1(VALU_DEP_4)
	v_add_f64_e32 v[0:1], v[4:5], v[0:1]
	v_fma_f64 v[4:5], v[22:23], s[16:17], v[66:67]
	v_add_f64_e32 v[48:49], v[48:49], v[56:57]
	v_fma_f64 v[56:57], v[22:23], s[16:17], -v[66:67]
	s_delay_alu instid0(VALU_DEP_4) | instskip(NEXT) | instid1(VALU_DEP_4)
	v_add_f64_e32 v[0:1], v[16:17], v[0:1]
	v_add_f64_e32 v[2:3], v[4:5], v[2:3]
	v_fma_f64 v[16:17], v[30:31], s[26:27], v[247:248]
	s_delay_alu instid0(VALU_DEP_4)
	v_add_f64_e32 v[54:55], v[56:57], v[54:55]
	v_add_f64_e32 v[18:19], v[18:19], v[48:49]
	v_fma_f64 v[48:49], v[30:31], s[26:27], -v[247:248]
	v_add_f64_e32 v[4:5], v[207:208], v[211:212]
	v_mul_f64_e32 v[247:248], s[48:49], v[50:51]
	v_add_f64_e32 v[16:17], v[16:17], v[2:3]
	v_add_f64_e32 v[2:3], v[38:39], v[0:1]
	;; [unrolled: 1-line block ×3, first 2 shown]
	v_mul_f64_e32 v[0:1], s[40:41], v[50:51]
	v_add_f64_e32 v[48:49], v[48:49], v[54:55]
	v_add_f64_e32 v[10:11], v[10:11], v[18:19]
	v_mul_f64_e32 v[18:19], s[12:13], v[70:71]
	v_fma_f64 v[46:47], v[38:39], s[34:35], v[6:7]
	v_fma_f64 v[6:7], v[38:39], s[34:35], -v[6:7]
	s_delay_alu instid0(VALU_DEP_2) | instskip(SKIP_1) | instid1(VALU_DEP_3)
	v_add_f64_e32 v[138:139], v[46:47], v[16:17]
	v_add_f64_e32 v[46:47], v[205:206], v[209:210]
	v_add_f64_e32 v[6:7], v[6:7], v[48:49]
	v_fma_f64 v[48:49], v[28:29], s[26:27], -v[18:19]
	s_delay_alu instid0(VALU_DEP_3) | instskip(SKIP_1) | instid1(VALU_DEP_2)
	v_fma_f64 v[16:17], v[46:47], s[42:43], -v[0:1]
	v_fma_f64 v[0:1], v[46:47], s[42:43], v[0:1]
	v_add_f64_e32 v[136:137], v[16:17], v[2:3]
	v_mul_f64_e32 v[2:3], s[40:41], v[32:33]
	s_delay_alu instid0(VALU_DEP_3) | instskip(SKIP_2) | instid1(VALU_DEP_4)
	v_add_f64_e32 v[132:133], v[0:1], v[10:11]
	v_mul_f64_e32 v[0:1], s[22:23], v[78:79]
	v_mul_f64_e32 v[16:17], s[44:45], v[78:79]
	v_fma_f64 v[176:177], v[4:5], s[42:43], v[2:3]
	v_fma_f64 v[2:3], v[4:5], s[42:43], -v[2:3]
	s_delay_alu instid0(VALU_DEP_2) | instskip(NEXT) | instid1(VALU_DEP_2)
	v_add_f64_e32 v[138:139], v[176:177], v[138:139]
	v_add_f64_e32 v[134:135], v[2:3], v[6:7]
	v_fma_f64 v[2:3], v[249:250], s[14:15], -v[0:1]
	v_mul_f64_e32 v[6:7], s[22:23], v[72:73]
	v_mul_f64_e32 v[176:177], s[44:45], v[42:43]
	v_fma_f64 v[0:1], v[249:250], s[14:15], v[0:1]
	s_delay_alu instid0(VALU_DEP_4) | instskip(NEXT) | instid1(VALU_DEP_4)
	v_add_f64_e32 v[2:3], v[2:3], v[146:147]
	v_fma_f64 v[10:11], v[251:252], s[14:15], v[6:7]
	v_fma_f64 v[6:7], v[251:252], s[14:15], -v[6:7]
	s_delay_alu instid0(VALU_DEP_4) | instskip(NEXT) | instid1(VALU_DEP_4)
	v_add_f64_e32 v[0:1], v[0:1], v[142:143]
	v_add_f64_e32 v[2:3], v[48:49], v[2:3]
	v_mul_f64_e32 v[48:49], s[12:13], v[68:69]
	v_add_f64_e32 v[10:11], v[10:11], v[144:145]
	v_add_f64_e32 v[6:7], v[6:7], v[140:141]
	s_delay_alu instid0(VALU_DEP_3) | instskip(NEXT) | instid1(VALU_DEP_1)
	v_fma_f64 v[54:55], v[26:27], s[26:27], v[48:49]
	v_add_f64_e32 v[10:11], v[54:55], v[10:11]
	v_mul_f64_e32 v[54:55], s[40:41], v[64:65]
	s_delay_alu instid0(VALU_DEP_1) | instskip(NEXT) | instid1(VALU_DEP_1)
	v_fma_f64 v[56:57], v[24:25], s[42:43], -v[54:55]
	v_add_f64_e32 v[2:3], v[56:57], v[2:3]
	v_mul_f64_e32 v[56:57], s[40:41], v[62:63]
	s_delay_alu instid0(VALU_DEP_1) | instskip(NEXT) | instid1(VALU_DEP_1)
	v_fma_f64 v[58:59], v[20:21], s[42:43], v[56:57]
	v_add_f64_e32 v[10:11], v[58:59], v[10:11]
	v_mul_f64_e32 v[58:59], s[50:51], v[52:53]
	s_delay_alu instid0(VALU_DEP_1) | instskip(NEXT) | instid1(VALU_DEP_1)
	v_fma_f64 v[60:61], v[14:15], s[34:35], -v[58:59]
	v_add_f64_e32 v[2:3], v[60:61], v[2:3]
	v_mul_f64_e32 v[60:61], s[50:51], v[44:45]
	s_delay_alu instid0(VALU_DEP_1) | instskip(NEXT) | instid1(VALU_DEP_1)
	;; [unrolled: 8-line block ×3, first 2 shown]
	v_fma_f64 v[76:77], v[30:31], s[16:17], v[74:75]
	v_add_f64_e32 v[10:11], v[76:77], v[10:11]
	v_mul_f64_e32 v[76:77], s[44:45], v[34:35]
	s_delay_alu instid0(VALU_DEP_1) | instskip(NEXT) | instid1(VALU_DEP_1)
	v_fma_f64 v[144:145], v[8:9], s[20:21], -v[76:77]
	v_add_f64_e32 v[2:3], v[144:145], v[2:3]
	v_fma_f64 v[144:145], v[38:39], s[20:21], v[176:177]
	s_delay_alu instid0(VALU_DEP_1) | instskip(SKIP_1) | instid1(VALU_DEP_1)
	v_add_f64_e32 v[10:11], v[144:145], v[10:11]
	v_fma_f64 v[144:145], v[46:47], s[28:29], -v[247:248]
	v_add_f64_e32 v[144:145], v[144:145], v[2:3]
	v_mul_f64_e32 v[2:3], s[48:49], v[32:33]
	s_delay_alu instid0(VALU_DEP_1) | instskip(SKIP_1) | instid1(VALU_DEP_2)
	v_fma_f64 v[146:147], v[4:5], s[28:29], v[2:3]
	v_fma_f64 v[2:3], v[4:5], s[28:29], -v[2:3]
	v_add_f64_e32 v[146:147], v[146:147], v[10:11]
	v_fma_f64 v[10:11], v[28:29], s[26:27], v[18:19]
	v_mul_f64_e32 v[18:19], s[54:55], v[70:71]
	s_delay_alu instid0(VALU_DEP_2) | instskip(SKIP_1) | instid1(VALU_DEP_3)
	v_add_f64_e32 v[0:1], v[10:11], v[0:1]
	v_fma_f64 v[10:11], v[26:27], s[26:27], -v[48:49]
	v_fma_f64 v[48:49], v[28:29], s[42:43], -v[18:19]
	s_delay_alu instid0(VALU_DEP_2) | instskip(SKIP_1) | instid1(VALU_DEP_1)
	v_add_f64_e32 v[6:7], v[10:11], v[6:7]
	v_fma_f64 v[10:11], v[24:25], s[42:43], v[54:55]
	v_add_f64_e32 v[0:1], v[10:11], v[0:1]
	v_fma_f64 v[10:11], v[20:21], s[42:43], -v[56:57]
	s_delay_alu instid0(VALU_DEP_1) | instskip(SKIP_1) | instid1(VALU_DEP_1)
	v_add_f64_e32 v[6:7], v[10:11], v[6:7]
	v_fma_f64 v[10:11], v[14:15], s[34:35], v[58:59]
	v_add_f64_e32 v[0:1], v[10:11], v[0:1]
	v_fma_f64 v[10:11], v[22:23], s[34:35], -v[60:61]
	s_delay_alu instid0(VALU_DEP_1) | instskip(SKIP_1) | instid1(VALU_DEP_1)
	;; [unrolled: 5-line block ×3, first 2 shown]
	v_add_f64_e32 v[6:7], v[10:11], v[6:7]
	v_fma_f64 v[10:11], v[8:9], s[20:21], v[76:77]
	v_add_f64_e32 v[0:1], v[10:11], v[0:1]
	v_fma_f64 v[10:11], v[38:39], s[20:21], -v[176:177]
	v_mul_f64_e32 v[176:177], s[22:23], v[42:43]
	s_delay_alu instid0(VALU_DEP_2) | instskip(SKIP_2) | instid1(VALU_DEP_3)
	v_add_f64_e32 v[6:7], v[10:11], v[6:7]
	v_fma_f64 v[10:11], v[46:47], s[28:29], v[247:248]
	v_mul_f64_e32 v[247:248], s[18:19], v[50:51]
	v_add_f64_e32 v[142:143], v[2:3], v[6:7]
	s_delay_alu instid0(VALU_DEP_3) | instskip(SKIP_2) | instid1(VALU_DEP_2)
	v_add_f64_e32 v[140:141], v[10:11], v[0:1]
	v_mul_f64_e32 v[0:1], s[12:13], v[78:79]
	v_mul_f64_e32 v[6:7], s[12:13], v[72:73]
	v_fma_f64 v[2:3], v[249:250], s[26:27], -v[0:1]
	s_delay_alu instid0(VALU_DEP_2) | instskip(SKIP_2) | instid1(VALU_DEP_4)
	v_fma_f64 v[10:11], v[251:252], s[26:27], v[6:7]
	v_fma_f64 v[0:1], v[249:250], s[26:27], v[0:1]
	v_fma_f64 v[6:7], v[251:252], s[26:27], -v[6:7]
	v_add_f64_e32 v[2:3], v[2:3], v[154:155]
	s_delay_alu instid0(VALU_DEP_4) | instskip(NEXT) | instid1(VALU_DEP_4)
	v_add_f64_e32 v[10:11], v[10:11], v[152:153]
	v_add_f64_e32 v[0:1], v[0:1], v[150:151]
	s_delay_alu instid0(VALU_DEP_4) | instskip(NEXT) | instid1(VALU_DEP_4)
	v_add_f64_e32 v[6:7], v[6:7], v[156:157]
	v_add_f64_e32 v[2:3], v[48:49], v[2:3]
	v_mul_f64_e32 v[48:49], s[54:55], v[68:69]
	s_delay_alu instid0(VALU_DEP_1) | instskip(NEXT) | instid1(VALU_DEP_1)
	v_fma_f64 v[54:55], v[26:27], s[42:43], v[48:49]
	v_add_f64_e32 v[10:11], v[54:55], v[10:11]
	v_mul_f64_e32 v[54:55], s[46:47], v[64:65]
	s_delay_alu instid0(VALU_DEP_1) | instskip(NEXT) | instid1(VALU_DEP_1)
	v_fma_f64 v[56:57], v[24:25], s[16:17], -v[54:55]
	v_add_f64_e32 v[2:3], v[56:57], v[2:3]
	v_mul_f64_e32 v[56:57], s[46:47], v[62:63]
	s_delay_alu instid0(VALU_DEP_1) | instskip(NEXT) | instid1(VALU_DEP_1)
	v_fma_f64 v[58:59], v[20:21], s[16:17], v[56:57]
	v_add_f64_e32 v[10:11], v[58:59], v[10:11]
	v_mul_f64_e32 v[58:59], s[52:53], v[52:53]
	s_delay_alu instid0(VALU_DEP_1) | instskip(NEXT) | instid1(VALU_DEP_1)
	v_fma_f64 v[60:61], v[14:15], s[24:25], -v[58:59]
	;; [unrolled: 8-line block ×4, first 2 shown]
	v_add_f64_e32 v[2:3], v[152:153], v[2:3]
	v_fma_f64 v[152:153], v[38:39], s[14:15], v[176:177]
	s_delay_alu instid0(VALU_DEP_1) | instskip(SKIP_1) | instid1(VALU_DEP_1)
	v_add_f64_e32 v[10:11], v[152:153], v[10:11]
	v_fma_f64 v[152:153], v[46:47], s[34:35], -v[247:248]
	v_add_f64_e32 v[152:153], v[152:153], v[2:3]
	v_mul_f64_e32 v[2:3], s[18:19], v[32:33]
	s_delay_alu instid0(VALU_DEP_1) | instskip(SKIP_1) | instid1(VALU_DEP_2)
	v_fma_f64 v[154:155], v[4:5], s[34:35], v[2:3]
	v_fma_f64 v[2:3], v[4:5], s[34:35], -v[2:3]
	v_add_f64_e32 v[154:155], v[154:155], v[10:11]
	v_fma_f64 v[10:11], v[28:29], s[42:43], v[18:19]
	v_mul_f64_e32 v[18:19], s[46:47], v[70:71]
	s_delay_alu instid0(VALU_DEP_2) | instskip(SKIP_1) | instid1(VALU_DEP_3)
	v_add_f64_e32 v[0:1], v[10:11], v[0:1]
	v_fma_f64 v[10:11], v[26:27], s[42:43], -v[48:49]
	v_fma_f64 v[48:49], v[28:29], s[16:17], -v[18:19]
	s_delay_alu instid0(VALU_DEP_2) | instskip(SKIP_1) | instid1(VALU_DEP_1)
	v_add_f64_e32 v[6:7], v[10:11], v[6:7]
	v_fma_f64 v[10:11], v[24:25], s[16:17], v[54:55]
	v_add_f64_e32 v[0:1], v[10:11], v[0:1]
	v_fma_f64 v[10:11], v[20:21], s[16:17], -v[56:57]
	s_delay_alu instid0(VALU_DEP_1) | instskip(SKIP_1) | instid1(VALU_DEP_1)
	v_add_f64_e32 v[6:7], v[10:11], v[6:7]
	v_fma_f64 v[10:11], v[14:15], s[24:25], v[58:59]
	v_add_f64_e32 v[0:1], v[10:11], v[0:1]
	v_fma_f64 v[10:11], v[22:23], s[24:25], -v[60:61]
	s_delay_alu instid0(VALU_DEP_1) | instskip(SKIP_1) | instid1(VALU_DEP_1)
	;; [unrolled: 5-line block ×3, first 2 shown]
	v_add_f64_e32 v[6:7], v[10:11], v[6:7]
	v_fma_f64 v[10:11], v[8:9], s[14:15], v[76:77]
	v_add_f64_e32 v[0:1], v[10:11], v[0:1]
	v_fma_f64 v[10:11], v[38:39], s[14:15], -v[176:177]
	v_mul_f64_e32 v[176:177], s[56:57], v[42:43]
	s_delay_alu instid0(VALU_DEP_2) | instskip(SKIP_2) | instid1(VALU_DEP_3)
	v_add_f64_e32 v[6:7], v[10:11], v[6:7]
	v_fma_f64 v[10:11], v[46:47], s[34:35], v[247:248]
	v_mul_f64_e32 v[247:248], s[52:53], v[50:51]
	v_add_f64_e32 v[150:151], v[2:3], v[6:7]
	s_delay_alu instid0(VALU_DEP_3) | instskip(SKIP_2) | instid1(VALU_DEP_2)
	v_add_f64_e32 v[148:149], v[10:11], v[0:1]
	v_mul_f64_e32 v[0:1], s[40:41], v[78:79]
	v_mul_f64_e32 v[6:7], s[40:41], v[72:73]
	v_fma_f64 v[2:3], v[249:250], s[42:43], -v[0:1]
	s_delay_alu instid0(VALU_DEP_2) | instskip(SKIP_2) | instid1(VALU_DEP_4)
	v_fma_f64 v[10:11], v[251:252], s[42:43], v[6:7]
	v_fma_f64 v[0:1], v[249:250], s[42:43], v[0:1]
	v_fma_f64 v[6:7], v[251:252], s[42:43], -v[6:7]
	v_add_f64_e32 v[2:3], v[2:3], v[162:163]
	s_delay_alu instid0(VALU_DEP_4) | instskip(NEXT) | instid1(VALU_DEP_4)
	v_add_f64_e32 v[10:11], v[10:11], v[160:161]
	v_add_f64_e32 v[0:1], v[0:1], v[158:159]
	s_delay_alu instid0(VALU_DEP_4) | instskip(NEXT) | instid1(VALU_DEP_4)
	v_add_f64_e32 v[6:7], v[6:7], v[164:165]
	v_add_f64_e32 v[2:3], v[48:49], v[2:3]
	v_mul_f64_e32 v[48:49], s[46:47], v[68:69]
	s_delay_alu instid0(VALU_DEP_1) | instskip(NEXT) | instid1(VALU_DEP_1)
	v_fma_f64 v[54:55], v[26:27], s[16:17], v[48:49]
	v_add_f64_e32 v[10:11], v[54:55], v[10:11]
	v_mul_f64_e32 v[54:55], s[48:49], v[64:65]
	s_delay_alu instid0(VALU_DEP_1) | instskip(NEXT) | instid1(VALU_DEP_1)
	v_fma_f64 v[56:57], v[24:25], s[28:29], -v[54:55]
	v_add_f64_e32 v[2:3], v[56:57], v[2:3]
	v_mul_f64_e32 v[56:57], s[48:49], v[62:63]
	s_delay_alu instid0(VALU_DEP_1) | instskip(NEXT) | instid1(VALU_DEP_1)
	v_fma_f64 v[58:59], v[20:21], s[28:29], v[56:57]
	v_add_f64_e32 v[10:11], v[58:59], v[10:11]
	v_mul_f64_e32 v[58:59], s[30:31], v[52:53]
	s_delay_alu instid0(VALU_DEP_1) | instskip(NEXT) | instid1(VALU_DEP_1)
	v_fma_f64 v[60:61], v[14:15], s[20:21], -v[58:59]
	;; [unrolled: 8-line block ×4, first 2 shown]
	v_add_f64_e32 v[2:3], v[160:161], v[2:3]
	v_fma_f64 v[160:161], v[38:39], s[26:27], v[176:177]
	s_delay_alu instid0(VALU_DEP_1) | instskip(SKIP_1) | instid1(VALU_DEP_1)
	v_add_f64_e32 v[10:11], v[160:161], v[10:11]
	v_fma_f64 v[160:161], v[46:47], s[24:25], -v[247:248]
	v_add_f64_e32 v[160:161], v[160:161], v[2:3]
	v_mul_f64_e32 v[2:3], s[52:53], v[32:33]
	s_delay_alu instid0(VALU_DEP_1) | instskip(SKIP_1) | instid1(VALU_DEP_2)
	v_fma_f64 v[162:163], v[4:5], s[24:25], v[2:3]
	v_fma_f64 v[2:3], v[4:5], s[24:25], -v[2:3]
	v_add_f64_e32 v[162:163], v[162:163], v[10:11]
	v_fma_f64 v[10:11], v[28:29], s[16:17], v[18:19]
	v_mul_f64_e32 v[18:19], s[52:53], v[70:71]
	s_delay_alu instid0(VALU_DEP_2) | instskip(SKIP_1) | instid1(VALU_DEP_3)
	v_add_f64_e32 v[0:1], v[10:11], v[0:1]
	v_fma_f64 v[10:11], v[26:27], s[16:17], -v[48:49]
	v_fma_f64 v[48:49], v[28:29], s[24:25], -v[18:19]
	s_delay_alu instid0(VALU_DEP_2) | instskip(SKIP_1) | instid1(VALU_DEP_1)
	v_add_f64_e32 v[6:7], v[10:11], v[6:7]
	v_fma_f64 v[10:11], v[24:25], s[28:29], v[54:55]
	v_add_f64_e32 v[0:1], v[10:11], v[0:1]
	v_fma_f64 v[10:11], v[20:21], s[28:29], -v[56:57]
	s_delay_alu instid0(VALU_DEP_1) | instskip(SKIP_1) | instid1(VALU_DEP_1)
	v_add_f64_e32 v[6:7], v[10:11], v[6:7]
	v_fma_f64 v[10:11], v[14:15], s[20:21], v[58:59]
	v_add_f64_e32 v[0:1], v[10:11], v[0:1]
	v_fma_f64 v[10:11], v[22:23], s[20:21], -v[60:61]
	s_delay_alu instid0(VALU_DEP_1) | instskip(SKIP_1) | instid1(VALU_DEP_1)
	;; [unrolled: 5-line block ×3, first 2 shown]
	v_add_f64_e32 v[6:7], v[10:11], v[6:7]
	v_fma_f64 v[10:11], v[8:9], s[26:27], v[76:77]
	v_add_f64_e32 v[0:1], v[10:11], v[0:1]
	v_fma_f64 v[10:11], v[38:39], s[26:27], -v[176:177]
	v_mul_f64_e32 v[176:177], s[38:39], v[42:43]
	s_delay_alu instid0(VALU_DEP_2) | instskip(SKIP_2) | instid1(VALU_DEP_3)
	v_add_f64_e32 v[6:7], v[10:11], v[6:7]
	v_fma_f64 v[10:11], v[46:47], s[24:25], v[247:248]
	v_mul_f64_e32 v[247:248], s[12:13], v[50:51]
	v_add_f64_e32 v[158:159], v[2:3], v[6:7]
	s_delay_alu instid0(VALU_DEP_3) | instskip(SKIP_2) | instid1(VALU_DEP_2)
	v_add_f64_e32 v[156:157], v[10:11], v[0:1]
	v_mul_f64_e32 v[0:1], s[50:51], v[78:79]
	v_mul_f64_e32 v[6:7], s[50:51], v[72:73]
	v_fma_f64 v[2:3], v[249:250], s[34:35], -v[0:1]
	s_delay_alu instid0(VALU_DEP_2) | instskip(SKIP_2) | instid1(VALU_DEP_4)
	v_fma_f64 v[10:11], v[251:252], s[34:35], v[6:7]
	v_fma_f64 v[0:1], v[249:250], s[34:35], v[0:1]
	v_fma_f64 v[6:7], v[251:252], s[34:35], -v[6:7]
	v_add_f64_e32 v[2:3], v[2:3], v[170:171]
	s_delay_alu instid0(VALU_DEP_4) | instskip(NEXT) | instid1(VALU_DEP_4)
	v_add_f64_e32 v[10:11], v[10:11], v[168:169]
	v_add_f64_e32 v[0:1], v[0:1], v[166:167]
	s_delay_alu instid0(VALU_DEP_4) | instskip(NEXT) | instid1(VALU_DEP_4)
	v_add_f64_e32 v[6:7], v[6:7], v[172:173]
	v_add_f64_e32 v[2:3], v[48:49], v[2:3]
	v_mul_f64_e32 v[48:49], s[52:53], v[68:69]
	s_delay_alu instid0(VALU_DEP_1) | instskip(NEXT) | instid1(VALU_DEP_1)
	v_fma_f64 v[54:55], v[26:27], s[24:25], v[48:49]
	v_add_f64_e32 v[10:11], v[54:55], v[10:11]
	v_mul_f64_e32 v[54:55], s[30:31], v[64:65]
	s_delay_alu instid0(VALU_DEP_1) | instskip(NEXT) | instid1(VALU_DEP_1)
	v_fma_f64 v[56:57], v[24:25], s[20:21], -v[54:55]
	v_add_f64_e32 v[2:3], v[56:57], v[2:3]
	v_mul_f64_e32 v[56:57], s[30:31], v[62:63]
	s_delay_alu instid0(VALU_DEP_1) | instskip(NEXT) | instid1(VALU_DEP_1)
	v_fma_f64 v[58:59], v[20:21], s[20:21], v[56:57]
	v_add_f64_e32 v[10:11], v[58:59], v[10:11]
	v_mul_f64_e32 v[58:59], s[40:41], v[52:53]
	s_delay_alu instid0(VALU_DEP_1) | instskip(NEXT) | instid1(VALU_DEP_1)
	v_fma_f64 v[60:61], v[14:15], s[42:43], -v[58:59]
	;; [unrolled: 8-line block ×4, first 2 shown]
	v_add_f64_e32 v[2:3], v[168:169], v[2:3]
	v_fma_f64 v[168:169], v[38:39], s[28:29], v[176:177]
	s_delay_alu instid0(VALU_DEP_1) | instskip(SKIP_1) | instid1(VALU_DEP_1)
	v_add_f64_e32 v[10:11], v[168:169], v[10:11]
	v_fma_f64 v[168:169], v[46:47], s[26:27], -v[247:248]
	v_add_f64_e32 v[168:169], v[168:169], v[2:3]
	v_mul_f64_e32 v[2:3], s[12:13], v[32:33]
	s_delay_alu instid0(VALU_DEP_1) | instskip(SKIP_1) | instid1(VALU_DEP_2)
	v_fma_f64 v[170:171], v[4:5], s[26:27], v[2:3]
	v_fma_f64 v[2:3], v[4:5], s[26:27], -v[2:3]
	v_add_f64_e32 v[170:171], v[170:171], v[10:11]
	v_fma_f64 v[10:11], v[28:29], s[24:25], v[18:19]
	v_mul_f64_e32 v[18:19], s[38:39], v[70:71]
	s_delay_alu instid0(VALU_DEP_2) | instskip(SKIP_1) | instid1(VALU_DEP_3)
	v_add_f64_e32 v[0:1], v[10:11], v[0:1]
	v_fma_f64 v[10:11], v[26:27], s[24:25], -v[48:49]
	v_fma_f64 v[48:49], v[28:29], s[28:29], -v[18:19]
	s_delay_alu instid0(VALU_DEP_2) | instskip(SKIP_1) | instid1(VALU_DEP_1)
	v_add_f64_e32 v[6:7], v[10:11], v[6:7]
	v_fma_f64 v[10:11], v[24:25], s[20:21], v[54:55]
	v_add_f64_e32 v[0:1], v[10:11], v[0:1]
	v_fma_f64 v[10:11], v[20:21], s[20:21], -v[56:57]
	s_delay_alu instid0(VALU_DEP_1) | instskip(SKIP_1) | instid1(VALU_DEP_1)
	v_add_f64_e32 v[6:7], v[10:11], v[6:7]
	v_fma_f64 v[10:11], v[14:15], s[42:43], v[58:59]
	v_add_f64_e32 v[0:1], v[10:11], v[0:1]
	v_fma_f64 v[10:11], v[22:23], s[42:43], -v[60:61]
	s_delay_alu instid0(VALU_DEP_1) | instskip(SKIP_1) | instid1(VALU_DEP_1)
	;; [unrolled: 5-line block ×3, first 2 shown]
	v_add_f64_e32 v[6:7], v[10:11], v[6:7]
	v_fma_f64 v[10:11], v[8:9], s[28:29], v[76:77]
	v_add_f64_e32 v[0:1], v[10:11], v[0:1]
	v_fma_f64 v[10:11], v[38:39], s[28:29], -v[176:177]
	v_mul_f64_e32 v[176:177], s[40:41], v[42:43]
	s_delay_alu instid0(VALU_DEP_2) | instskip(SKIP_2) | instid1(VALU_DEP_3)
	v_add_f64_e32 v[6:7], v[10:11], v[6:7]
	v_fma_f64 v[10:11], v[46:47], s[26:27], v[247:248]
	v_mul_f64_e32 v[247:248], s[44:45], v[50:51]
	v_add_f64_e32 v[166:167], v[2:3], v[6:7]
	s_delay_alu instid0(VALU_DEP_3) | instskip(SKIP_2) | instid1(VALU_DEP_2)
	v_add_f64_e32 v[164:165], v[10:11], v[0:1]
	v_mul_f64_e32 v[0:1], s[46:47], v[78:79]
	v_mul_f64_e32 v[6:7], s[46:47], v[72:73]
	v_fma_f64 v[2:3], v[249:250], s[16:17], -v[0:1]
	s_delay_alu instid0(VALU_DEP_2) | instskip(SKIP_2) | instid1(VALU_DEP_4)
	v_fma_f64 v[10:11], v[251:252], s[16:17], v[6:7]
	v_fma_f64 v[0:1], v[249:250], s[16:17], v[0:1]
	v_fma_f64 v[6:7], v[251:252], s[16:17], -v[6:7]
	v_add_f64_e32 v[2:3], v[2:3], v[174:175]
	s_delay_alu instid0(VALU_DEP_4) | instskip(NEXT) | instid1(VALU_DEP_2)
	v_add_f64_e32 v[10:11], v[10:11], v[178:179]
	v_add_f64_e32 v[2:3], v[48:49], v[2:3]
	v_mul_f64_e32 v[48:49], s[38:39], v[68:69]
	s_delay_alu instid0(VALU_DEP_1) | instskip(NEXT) | instid1(VALU_DEP_1)
	v_fma_f64 v[54:55], v[26:27], s[28:29], v[48:49]
	v_add_f64_e32 v[10:11], v[54:55], v[10:11]
	v_mul_f64_e32 v[54:55], s[18:19], v[64:65]
	s_delay_alu instid0(VALU_DEP_1) | instskip(NEXT) | instid1(VALU_DEP_1)
	v_fma_f64 v[56:57], v[24:25], s[34:35], -v[54:55]
	v_add_f64_e32 v[2:3], v[56:57], v[2:3]
	v_mul_f64_e32 v[56:57], s[18:19], v[62:63]
	s_delay_alu instid0(VALU_DEP_1) | instskip(NEXT) | instid1(VALU_DEP_1)
	v_fma_f64 v[58:59], v[20:21], s[34:35], v[56:57]
	v_add_f64_e32 v[10:11], v[58:59], v[10:11]
	v_mul_f64_e32 v[58:59], s[58:59], v[52:53]
	s_delay_alu instid0(VALU_DEP_1) | instskip(NEXT) | instid1(VALU_DEP_1)
	v_fma_f64 v[60:61], v[14:15], s[14:15], -v[58:59]
	;; [unrolled: 8-line block ×4, first 2 shown]
	v_add_f64_e32 v[2:3], v[172:173], v[2:3]
	v_fma_f64 v[172:173], v[38:39], s[42:43], v[176:177]
	s_delay_alu instid0(VALU_DEP_1) | instskip(SKIP_1) | instid1(VALU_DEP_1)
	v_add_f64_e32 v[10:11], v[172:173], v[10:11]
	v_fma_f64 v[172:173], v[46:47], s[20:21], -v[247:248]
	v_add_f64_e32 v[172:173], v[172:173], v[2:3]
	v_mul_f64_e32 v[2:3], s[44:45], v[32:33]
	s_delay_alu instid0(VALU_DEP_1) | instskip(SKIP_1) | instid1(VALU_DEP_2)
	v_fma_f64 v[174:175], v[4:5], s[20:21], v[2:3]
	v_fma_f64 v[2:3], v[4:5], s[20:21], -v[2:3]
	v_add_f64_e32 v[174:175], v[174:175], v[10:11]
	scratch_load_b64 v[10:11], off, off offset:396 th:TH_LOAD_LU ; 8-byte Folded Reload
	s_wait_loadcnt 0x0
	v_add_f64_e32 v[0:1], v[0:1], v[10:11]
	scratch_load_b64 v[10:11], off, off offset:388 th:TH_LOAD_LU ; 8-byte Folded Reload
	s_wait_loadcnt 0x0
	v_add_f64_e32 v[6:7], v[6:7], v[10:11]
	v_fma_f64 v[10:11], v[28:29], s[28:29], v[18:19]
	v_mul_f64_e32 v[18:19], s[22:23], v[70:71]
	s_delay_alu instid0(VALU_DEP_2) | instskip(SKIP_1) | instid1(VALU_DEP_3)
	v_add_f64_e32 v[0:1], v[10:11], v[0:1]
	v_fma_f64 v[10:11], v[26:27], s[28:29], -v[48:49]
	v_fma_f64 v[48:49], v[28:29], s[14:15], -v[18:19]
	v_fma_f64 v[18:19], v[28:29], s[14:15], v[18:19]
	s_delay_alu instid0(VALU_DEP_3) | instskip(SKIP_1) | instid1(VALU_DEP_1)
	v_add_f64_e32 v[6:7], v[10:11], v[6:7]
	v_fma_f64 v[10:11], v[24:25], s[34:35], v[54:55]
	v_add_f64_e32 v[0:1], v[10:11], v[0:1]
	v_fma_f64 v[10:11], v[20:21], s[34:35], -v[56:57]
	s_delay_alu instid0(VALU_DEP_1) | instskip(SKIP_3) | instid1(VALU_DEP_3)
	v_add_f64_e32 v[6:7], v[10:11], v[6:7]
	v_fma_f64 v[10:11], v[14:15], s[14:15], v[58:59]
	v_mul_f64_e32 v[58:59], s[56:57], v[64:65]
	v_mul_f64_e32 v[64:65], s[52:53], v[64:65]
	v_add_f64_e32 v[0:1], v[10:11], v[0:1]
	v_fma_f64 v[10:11], v[22:23], s[14:15], -v[60:61]
	v_mul_f64_e32 v[60:61], s[56:57], v[62:63]
	v_mul_f64_e32 v[62:63], s[52:53], v[62:63]
	s_delay_alu instid0(VALU_DEP_3) | instskip(SKIP_3) | instid1(VALU_DEP_3)
	v_add_f64_e32 v[6:7], v[10:11], v[6:7]
	v_fma_f64 v[10:11], v[12:13], s[24:25], v[66:67]
	v_mul_f64_e32 v[66:67], s[38:39], v[52:53]
	v_mul_f64_e32 v[52:53], s[12:13], v[52:53]
	v_add_f64_e32 v[0:1], v[10:11], v[0:1]
	v_fma_f64 v[10:11], v[30:31], s[24:25], -v[74:75]
	v_mul_f64_e32 v[74:75], s[38:39], v[44:45]
	v_mul_f64_e32 v[44:45], s[12:13], v[44:45]
	s_delay_alu instid0(VALU_DEP_3) | instskip(SKIP_3) | instid1(VALU_DEP_3)
	v_add_f64_e32 v[6:7], v[10:11], v[6:7]
	v_fma_f64 v[10:11], v[8:9], s[42:43], v[76:77]
	v_mul_f64_e32 v[76:77], s[40:41], v[40:41]
	v_mul_f64_e32 v[40:41], s[44:45], v[40:41]
	v_add_f64_e32 v[0:1], v[10:11], v[0:1]
	v_fma_f64 v[10:11], v[38:39], s[42:43], -v[176:177]
	s_delay_alu instid0(VALU_DEP_1) | instskip(SKIP_3) | instid1(VALU_DEP_4)
	v_add_f64_e32 v[6:7], v[10:11], v[6:7]
	v_fma_f64 v[10:11], v[46:47], s[20:21], v[247:248]
	v_mul_f64_e32 v[247:248], s[40:41], v[36:37]
	v_mul_f64_e32 v[36:37], s[44:45], v[36:37]
	v_add_f64_e32 v[178:179], v[2:3], v[6:7]
	s_delay_alu instid0(VALU_DEP_4) | instskip(SKIP_4) | instid1(VALU_DEP_2)
	v_add_f64_e32 v[176:177], v[10:11], v[0:1]
	scratch_load_b64 v[0:1], off, off offset:380 th:TH_LOAD_LU ; 8-byte Folded Reload
	v_fma_f64 v[2:3], v[249:250], s[20:21], -v[16:17]
	v_mul_f64_e32 v[6:7], s[44:45], v[72:73]
	v_fma_f64 v[16:17], v[249:250], s[20:21], v[16:17]
	v_fma_f64 v[10:11], v[251:252], s[20:21], v[6:7]
	v_fma_f64 v[6:7], v[251:252], s[20:21], -v[6:7]
	s_wait_loadcnt 0x0
	v_add_f64_e32 v[2:3], v[2:3], v[0:1]
	scratch_load_b64 v[0:1], off, off offset:372 th:TH_LOAD_LU ; 8-byte Folded Reload
	v_add_f64_e32 v[2:3], v[48:49], v[2:3]
	v_mul_f64_e32 v[48:49], s[22:23], v[68:69]
	s_delay_alu instid0(VALU_DEP_1) | instskip(SKIP_4) | instid1(VALU_DEP_3)
	v_fma_f64 v[54:55], v[26:27], s[14:15], v[48:49]
	s_wait_loadcnt 0x0
	v_add_f64_e32 v[10:11], v[10:11], v[0:1]
	v_mul_f64_e32 v[0:1], s[52:53], v[34:35]
	v_mul_f64_e32 v[34:35], s[2:3], v[34:35]
	v_add_f64_e32 v[10:11], v[54:55], v[10:11]
	v_fma_f64 v[54:55], v[24:25], s[26:27], -v[58:59]
	s_delay_alu instid0(VALU_DEP_1) | instskip(SKIP_1) | instid1(VALU_DEP_1)
	v_add_f64_e32 v[2:3], v[54:55], v[2:3]
	v_fma_f64 v[54:55], v[20:21], s[26:27], v[60:61]
	v_add_f64_e32 v[10:11], v[54:55], v[10:11]
	v_fma_f64 v[54:55], v[14:15], s[28:29], -v[66:67]
	s_delay_alu instid0(VALU_DEP_1) | instskip(SKIP_1) | instid1(VALU_DEP_1)
	v_add_f64_e32 v[2:3], v[54:55], v[2:3]
	v_fma_f64 v[54:55], v[22:23], s[28:29], v[74:75]
	;; [unrolled: 5-line block ×3, first 2 shown]
	v_add_f64_e32 v[10:11], v[54:55], v[10:11]
	v_fma_f64 v[54:55], v[8:9], s[24:25], -v[0:1]
	v_fma_f64 v[0:1], v[8:9], s[24:25], v[0:1]
	s_delay_alu instid0(VALU_DEP_2) | instskip(SKIP_2) | instid1(VALU_DEP_2)
	v_add_f64_e32 v[54:55], v[54:55], v[2:3]
	v_mul_f64_e32 v[2:3], s[52:53], v[42:43]
	v_mul_f64_e32 v[42:43], s[2:3], v[42:43]
	v_fma_f64 v[56:57], v[38:39], s[24:25], v[2:3]
	v_fma_f64 v[2:3], v[38:39], s[24:25], -v[2:3]
	s_delay_alu instid0(VALU_DEP_2) | instskip(SKIP_2) | instid1(VALU_DEP_2)
	v_add_f64_e32 v[56:57], v[56:57], v[10:11]
	v_mul_f64_e32 v[10:11], s[2:3], v[50:51]
	v_mul_f64_e32 v[50:51], s[58:59], v[50:51]
	v_fma_f64 v[245:246], v[46:47], s[16:17], -v[10:11]
	s_delay_alu instid0(VALU_DEP_1) | instskip(SKIP_2) | instid1(VALU_DEP_2)
	v_add_f64_e32 v[54:55], v[245:246], v[54:55]
	v_mul_f64_e32 v[245:246], s[2:3], v[32:33]
	v_mul_f64_e32 v[32:33], s[58:59], v[32:33]
	v_fma_f64 v[193:194], v[4:5], s[16:17], v[245:246]
	s_delay_alu instid0(VALU_DEP_1)
	v_add_f64_e32 v[56:57], v[193:194], v[56:57]
	scratch_load_b64 v[193:194], off, off offset:332 th:TH_LOAD_LU ; 8-byte Folded Reload
	s_wait_loadcnt 0x0
	v_add_f64_e32 v[16:17], v[16:17], v[193:194]
	scratch_load_b64 v[193:194], off, off offset:324 th:TH_LOAD_LU ; 8-byte Folded Reload
	v_add_f64_e32 v[16:17], v[18:19], v[16:17]
	v_fma_f64 v[18:19], v[26:27], s[14:15], -v[48:49]
	v_mul_f64_e32 v[48:49], s[18:19], v[70:71]
	s_wait_loadcnt 0x0
	v_add_f64_e32 v[6:7], v[6:7], v[193:194]
	s_delay_alu instid0(VALU_DEP_1) | instskip(SKIP_1) | instid1(VALU_DEP_1)
	v_add_f64_e32 v[6:7], v[18:19], v[6:7]
	v_fma_f64 v[18:19], v[24:25], s[26:27], v[58:59]
	v_add_f64_e32 v[16:17], v[18:19], v[16:17]
	v_fma_f64 v[18:19], v[20:21], s[26:27], -v[60:61]
	s_delay_alu instid0(VALU_DEP_1) | instskip(SKIP_2) | instid1(VALU_DEP_2)
	v_add_f64_e32 v[6:7], v[18:19], v[6:7]
	v_fma_f64 v[18:19], v[14:15], s[28:29], v[66:67]
	v_mul_f64_e32 v[66:67], s[18:19], v[68:69]
	v_add_f64_e32 v[16:17], v[18:19], v[16:17]
	v_fma_f64 v[18:19], v[22:23], s[28:29], -v[74:75]
	s_delay_alu instid0(VALU_DEP_1) | instskip(SKIP_1) | instid1(VALU_DEP_1)
	v_add_f64_e32 v[6:7], v[18:19], v[6:7]
	v_fma_f64 v[18:19], v[12:13], s[42:43], v[76:77]
	v_add_f64_e32 v[16:17], v[18:19], v[16:17]
	v_fma_f64 v[18:19], v[30:31], s[42:43], -v[247:248]
	s_delay_alu instid0(VALU_DEP_2) | instskip(NEXT) | instid1(VALU_DEP_2)
	v_add_f64_e32 v[0:1], v[0:1], v[16:17]
	v_add_f64_e32 v[6:7], v[18:19], v[6:7]
	scratch_load_b64 v[16:17], off, off offset:308 th:TH_LOAD_LU ; 8-byte Folded Reload
	v_add_f64_e32 v[2:3], v[2:3], v[6:7]
	v_fma_f64 v[6:7], v[46:47], s[16:17], v[10:11]
	v_fma_f64 v[10:11], v[4:5], s[16:17], -v[245:246]
	s_delay_alu instid0(VALU_DEP_2) | instskip(SKIP_3) | instid1(VALU_DEP_2)
	v_add_f64_e32 v[58:59], v[6:7], v[0:1]
	scratch_load_b64 v[6:7], off, off offset:316 th:TH_LOAD_LU ; 8-byte Folded Reload
	v_mul_f64_e32 v[0:1], s[48:49], v[78:79]
	v_add_f64_e32 v[60:61], v[10:11], v[2:3]
	v_fma_f64 v[2:3], v[249:250], s[28:29], -v[0:1]
	v_fma_f64 v[0:1], v[249:250], s[28:29], v[0:1]
	s_wait_loadcnt 0x0
	s_delay_alu instid0(VALU_DEP_2) | instskip(SKIP_1) | instid1(VALU_DEP_1)
	v_add_f64_e32 v[2:3], v[2:3], v[6:7]
	v_mul_f64_e32 v[6:7], s[48:49], v[72:73]
	v_fma_f64 v[10:11], v[251:252], s[28:29], v[6:7]
	s_delay_alu instid0(VALU_DEP_1) | instskip(SKIP_1) | instid1(VALU_DEP_1)
	v_add_f64_e32 v[10:11], v[10:11], v[16:17]
	v_fma_f64 v[16:17], v[28:29], s[34:35], -v[48:49]
	v_add_f64_e32 v[2:3], v[16:17], v[2:3]
	v_fma_f64 v[16:17], v[26:27], s[34:35], v[66:67]
	s_delay_alu instid0(VALU_DEP_1) | instskip(SKIP_2) | instid1(VALU_DEP_2)
	v_add_f64_e32 v[10:11], v[16:17], v[10:11]
	v_fma_f64 v[16:17], v[24:25], s[24:25], -v[64:65]
	v_fma_f64 v[24:25], v[24:25], s[24:25], v[64:65]
	v_add_f64_e32 v[2:3], v[16:17], v[2:3]
	v_fma_f64 v[16:17], v[20:21], s[24:25], v[62:63]
	v_fma_f64 v[20:21], v[20:21], s[24:25], -v[62:63]
	s_delay_alu instid0(VALU_DEP_2) | instskip(SKIP_1) | instid1(VALU_DEP_1)
	v_add_f64_e32 v[10:11], v[16:17], v[10:11]
	v_fma_f64 v[16:17], v[14:15], s[26:27], -v[52:53]
	v_add_f64_e32 v[2:3], v[16:17], v[2:3]
	v_fma_f64 v[16:17], v[22:23], s[26:27], v[44:45]
	s_delay_alu instid0(VALU_DEP_1) | instskip(SKIP_2) | instid1(VALU_DEP_2)
	v_add_f64_e32 v[10:11], v[16:17], v[10:11]
	v_fma_f64 v[16:17], v[12:13], s[20:21], -v[40:41]
	v_fma_f64 v[12:13], v[12:13], s[20:21], v[40:41]
	v_add_f64_e32 v[2:3], v[16:17], v[2:3]
	v_fma_f64 v[16:17], v[30:31], s[20:21], v[36:37]
	s_delay_alu instid0(VALU_DEP_1) | instskip(SKIP_1) | instid1(VALU_DEP_1)
	v_add_f64_e32 v[10:11], v[16:17], v[10:11]
	v_fma_f64 v[16:17], v[8:9], s[16:17], -v[34:35]
	v_add_f64_e32 v[2:3], v[16:17], v[2:3]
	v_fma_f64 v[16:17], v[38:39], s[16:17], v[42:43]
	s_delay_alu instid0(VALU_DEP_1) | instskip(SKIP_1) | instid1(VALU_DEP_1)
	v_add_f64_e32 v[10:11], v[16:17], v[10:11]
	v_fma_f64 v[16:17], v[46:47], s[14:15], -v[50:51]
	v_add_f64_e32 v[16:17], v[16:17], v[2:3]
	v_fma_f64 v[2:3], v[4:5], s[14:15], v[32:33]
	v_fma_f64 v[4:5], v[4:5], s[14:15], -v[32:33]
	s_delay_alu instid0(VALU_DEP_2)
	v_add_f64_e32 v[18:19], v[2:3], v[10:11]
	v_fma_f64 v[10:11], v[26:27], s[34:35], -v[66:67]
	scratch_load_b64 v[26:27], off, off offset:292 th:TH_LOAD_LU ; 8-byte Folded Reload
	v_fma_f64 v[2:3], v[251:252], s[28:29], -v[6:7]
	v_fma_f64 v[6:7], v[28:29], s[34:35], v[48:49]
	s_wait_loadcnt 0x0
	v_add_f64_e32 v[0:1], v[0:1], v[26:27]
	scratch_load_b64 v[26:27], off, off offset:300 th:TH_LOAD_LU ; 8-byte Folded Reload
	v_add_f64_e32 v[0:1], v[6:7], v[0:1]
	v_fma_f64 v[6:7], v[14:15], s[26:27], v[52:53]
	v_fma_f64 v[14:15], v[30:31], s[20:21], -v[36:37]
	s_delay_alu instid0(VALU_DEP_3) | instskip(NEXT) | instid1(VALU_DEP_1)
	v_add_f64_e32 v[0:1], v[24:25], v[0:1]
	v_add_f64_e32 v[0:1], v[6:7], v[0:1]
	v_fma_f64 v[6:7], v[8:9], s[16:17], v[34:35]
	v_fma_f64 v[8:9], v[38:39], s[16:17], -v[42:43]
	s_delay_alu instid0(VALU_DEP_3) | instskip(NEXT) | instid1(VALU_DEP_1)
	v_add_f64_e32 v[0:1], v[12:13], v[0:1]
	v_add_f64_e32 v[0:1], v[6:7], v[0:1]
	s_wait_loadcnt 0x0
	v_add_f64_e32 v[2:3], v[2:3], v[26:27]
	s_delay_alu instid0(VALU_DEP_1) | instskip(SKIP_1) | instid1(VALU_DEP_2)
	v_add_f64_e32 v[2:3], v[10:11], v[2:3]
	v_fma_f64 v[10:11], v[22:23], s[26:27], -v[44:45]
	v_add_f64_e32 v[2:3], v[20:21], v[2:3]
	s_delay_alu instid0(VALU_DEP_1) | instskip(SKIP_1) | instid1(VALU_DEP_2)
	v_add_f64_e32 v[2:3], v[10:11], v[2:3]
	v_fma_f64 v[10:11], v[46:47], s[14:15], v[50:51]
	v_add_f64_e32 v[2:3], v[14:15], v[2:3]
	s_delay_alu instid0(VALU_DEP_2) | instskip(NEXT) | instid1(VALU_DEP_2)
	v_add_f64_e32 v[0:1], v[10:11], v[0:1]
	v_add_f64_e32 v[2:3], v[8:9], v[2:3]
	s_delay_alu instid0(VALU_DEP_1)
	v_add_f64_e32 v[2:3], v[4:5], v[2:3]
	s_clause 0x1
	scratch_load_b64 v[4:5], off, off offset:260 th:TH_LOAD_LU
	scratch_load_b64 v[6:7], off, off offset:276 th:TH_LOAD_LU
	s_wait_loadcnt 0x0
	v_add_f64_e32 v[4:5], v[4:5], v[6:7]
	s_clause 0x1
	scratch_load_b64 v[6:7], off, off offset:268 th:TH_LOAD_LU
	scratch_load_b64 v[8:9], off, off offset:284 th:TH_LOAD_LU
	s_wait_loadcnt 0x0
	v_add_f64_e32 v[6:7], v[6:7], v[8:9]
	scratch_load_b64 v[8:9], off, off offset:340 th:TH_LOAD_LU ; 8-byte Folded Reload
	s_wait_loadcnt 0x0
	v_add_f64_e32 v[4:5], v[4:5], v[8:9]
	scratch_load_b64 v[8:9], off, off offset:348 th:TH_LOAD_LU ; 8-byte Folded Reload
	;; [unrolled: 3-line block ×5, first 2 shown]
	v_add_f64_e32 v[6:7], v[6:7], v[195:196]
	s_delay_alu instid0(VALU_DEP_1) | instskip(NEXT) | instid1(VALU_DEP_1)
	v_add_f64_e32 v[6:7], v[6:7], v[199:200]
	v_add_f64_e32 v[6:7], v[6:7], v[203:204]
	s_delay_alu instid0(VALU_DEP_1) | instskip(NEXT) | instid1(VALU_DEP_1)
	v_add_f64_e32 v[6:7], v[6:7], v[207:208]
	;; [unrolled: 3-line block ×3, first 2 shown]
	v_add_f64_e32 v[6:7], v[6:7], v[219:220]
	s_delay_alu instid0(VALU_DEP_1) | instskip(SKIP_2) | instid1(VALU_DEP_2)
	v_add_f64_e32 v[6:7], v[6:7], v[223:224]
	s_wait_loadcnt 0x0
	v_add_f64_e32 v[4:5], v[4:5], v[8:9]
	v_add_f64_e32 v[6:7], v[6:7], v[189:190]
	s_delay_alu instid0(VALU_DEP_2) | instskip(NEXT) | instid1(VALU_DEP_2)
	v_add_f64_e32 v[4:5], v[4:5], v[197:198]
	v_add_f64_e32 v[6:7], v[6:7], v[231:232]
	s_delay_alu instid0(VALU_DEP_2) | instskip(NEXT) | instid1(VALU_DEP_2)
	;; [unrolled: 3-line block ×3, first 2 shown]
	v_add_f64_e32 v[4:5], v[4:5], v[205:206]
	v_add_f64_e32 v[6:7], v[6:7], v[183:184]
	s_delay_alu instid0(VALU_DEP_2) | instskip(NEXT) | instid1(VALU_DEP_1)
	v_add_f64_e32 v[4:5], v[4:5], v[209:210]
	v_add_f64_e32 v[4:5], v[4:5], v[213:214]
	s_delay_alu instid0(VALU_DEP_1) | instskip(NEXT) | instid1(VALU_DEP_1)
	v_add_f64_e32 v[4:5], v[4:5], v[217:218]
	v_add_f64_e32 v[4:5], v[4:5], v[221:222]
	s_delay_alu instid0(VALU_DEP_1) | instskip(NEXT) | instid1(VALU_DEP_1)
	v_add_f64_e32 v[4:5], v[4:5], v[191:192]
	v_add_f64_e32 v[4:5], v[4:5], v[229:230]
	s_delay_alu instid0(VALU_DEP_1) | instskip(NEXT) | instid1(VALU_DEP_1)
	v_add_f64_e32 v[4:5], v[4:5], v[187:188]
	v_add_f64_e32 v[4:5], v[4:5], v[181:182]
	ds_store_b128 v180, v[136:139] offset:272
	ds_store_b128 v180, v[144:147] offset:544
	;; [unrolled: 1-line block ×16, first 2 shown]
	ds_store_b128 v180, v[4:7]
	global_wb scope:SCOPE_SE
	s_wait_storecnt_dscnt 0x0
	s_barrier_signal -1
	s_barrier_wait -1
	global_inv scope:SCOPE_SE
	global_load_b128 v[0:3], v253, s[8:9] offset:4624
	ds_load_b128 v[4:7], v180
	ds_load_b128 v[16:19], v180 offset:2176
	s_add_nc_u64 s[8:9], s[8:9], 0x1210
	ds_load_b128 v[22:25], v180 offset:2448
	ds_load_b128 v[64:67], v180 offset:4352
	;; [unrolled: 1-line block ×8, first 2 shown]
	s_wait_loadcnt_dscnt 0x9
	v_mul_f64_e32 v[8:9], v[6:7], v[2:3]
	v_mul_f64_e32 v[2:3], v[4:5], v[2:3]
	s_delay_alu instid0(VALU_DEP_2) | instskip(NEXT) | instid1(VALU_DEP_2)
	v_fma_f64 v[132:133], v[4:5], v[0:1], -v[8:9]
	v_fma_f64 v[134:135], v[6:7], v[0:1], v[2:3]
	global_load_b128 v[0:3], v253, s[8:9] offset:272
	ds_load_b128 v[4:7], v180 offset:272
	s_wait_loadcnt_dscnt 0x0
	v_mul_f64_e32 v[8:9], v[6:7], v[2:3]
	v_mul_f64_e32 v[2:3], v[4:5], v[2:3]
	s_delay_alu instid0(VALU_DEP_2) | instskip(NEXT) | instid1(VALU_DEP_2)
	v_fma_f64 v[136:137], v[4:5], v[0:1], -v[8:9]
	v_fma_f64 v[138:139], v[6:7], v[0:1], v[2:3]
	global_load_b128 v[0:3], v253, s[8:9] offset:544
	ds_load_b128 v[4:7], v180 offset:544
	;; [unrolled: 8-line block ×7, first 2 shown]
	s_wait_loadcnt_dscnt 0x0
	v_mul_f64_e32 v[0:1], v[12:13], v[8:9]
	v_mul_f64_e32 v[14:15], v[10:11], v[8:9]
	s_delay_alu instid0(VALU_DEP_2) | instskip(NEXT) | instid1(VALU_DEP_2)
	v_fma_f64 v[8:9], v[10:11], v[6:7], -v[0:1]
	v_fma_f64 v[10:11], v[12:13], v[6:7], v[14:15]
	global_load_b128 v[12:15], v253, s[8:9] offset:2176
	s_wait_loadcnt 0x0
	v_mul_f64_e32 v[0:1], v[18:19], v[14:15]
	v_mul_f64_e32 v[6:7], v[16:17], v[14:15]
	s_delay_alu instid0(VALU_DEP_2) | instskip(NEXT) | instid1(VALU_DEP_2)
	v_fma_f64 v[14:15], v[16:17], v[12:13], -v[0:1]
	v_fma_f64 v[16:17], v[18:19], v[12:13], v[6:7]
	global_load_b128 v[18:21], v253, s[8:9] offset:2448
	s_wait_loadcnt 0x0
	;; [unrolled: 7-line block ×9, first 2 shown]
	v_mul_f64_e32 v[0:1], v[66:67], v[62:63]
	v_mul_f64_e32 v[6:7], v[64:65], v[62:63]
	s_delay_alu instid0(VALU_DEP_2) | instskip(NEXT) | instid1(VALU_DEP_2)
	v_fma_f64 v[62:63], v[64:65], v[60:61], -v[0:1]
	v_fma_f64 v[64:65], v[66:67], v[60:61], v[6:7]
	ds_store_b128 v180, v[132:135]
	ds_store_b128 v180, v[136:139] offset:272
	ds_store_b128 v180, v[140:143] offset:544
	;; [unrolled: 1-line block ×16, first 2 shown]
	global_wb scope:SCOPE_SE
	s_wait_dscnt 0x0
	s_barrier_signal -1
	s_barrier_wait -1
	global_inv scope:SCOPE_SE
	ds_load_b128 v[132:135], v180
	ds_load_b128 v[136:139], v180 offset:272
	ds_load_b128 v[140:143], v180 offset:544
	;; [unrolled: 1-line block ×10, first 2 shown]
	s_wait_dscnt 0x9
	v_add_f64_e32 v[0:1], v[132:133], v[136:137]
	v_add_f64_e32 v[2:3], v[134:135], v[138:139]
	s_wait_dscnt 0x1
	v_add_f64_e32 v[28:29], v[166:167], v[170:171]
	s_wait_dscnt 0x0
	v_add_f64_e32 v[181:182], v[162:163], v[10:11]
	v_add_f64_e64 v[183:184], v[162:163], -v[10:11]
	v_add_f64_e64 v[34:35], v[166:167], -v[170:171]
	v_add_f64_e32 v[0:1], v[0:1], v[140:141]
	v_add_f64_e32 v[2:3], v[2:3], v[142:143]
	v_mul_f64_e32 v[211:212], s[34:35], v[181:182]
	v_mul_f64_e32 v[209:210], s[18:19], v[183:184]
	s_delay_alu instid0(VALU_DEP_4) | instskip(NEXT) | instid1(VALU_DEP_4)
	v_add_f64_e32 v[0:1], v[0:1], v[144:145]
	v_add_f64_e32 v[2:3], v[2:3], v[146:147]
	s_delay_alu instid0(VALU_DEP_2) | instskip(NEXT) | instid1(VALU_DEP_2)
	v_add_f64_e32 v[0:1], v[0:1], v[148:149]
	v_add_f64_e32 v[2:3], v[2:3], v[150:151]
	s_delay_alu instid0(VALU_DEP_2) | instskip(NEXT) | instid1(VALU_DEP_2)
	;; [unrolled: 3-line block ×5, first 2 shown]
	v_add_f64_e32 v[4:5], v[0:1], v[164:165]
	v_add_f64_e32 v[6:7], v[2:3], v[166:167]
	;; [unrolled: 1-line block ×3, first 2 shown]
	v_add_f64_e64 v[2:3], v[164:165], -v[168:169]
	s_delay_alu instid0(VALU_DEP_4) | instskip(NEXT) | instid1(VALU_DEP_4)
	v_add_f64_e32 v[12:13], v[4:5], v[168:169]
	v_add_f64_e32 v[14:15], v[6:7], v[170:171]
	;; [unrolled: 1-line block ×3, first 2 shown]
	v_add_f64_e64 v[6:7], v[160:161], -v[8:9]
	s_delay_alu instid0(VALU_DEP_4) | instskip(NEXT) | instid1(VALU_DEP_4)
	v_add_f64_e32 v[16:17], v[12:13], v[8:9]
	v_add_f64_e32 v[18:19], v[14:15], v[10:11]
	ds_load_b128 v[12:15], v180 offset:2992
	s_wait_dscnt 0x0
	v_add_f64_e32 v[8:9], v[156:157], v[12:13]
	v_add_f64_e32 v[195:196], v[158:159], v[14:15]
	v_add_f64_e64 v[10:11], v[156:157], -v[12:13]
	v_add_f64_e64 v[205:206], v[158:159], -v[14:15]
	v_add_f64_e32 v[20:21], v[16:17], v[12:13]
	v_add_f64_e32 v[22:23], v[18:19], v[14:15]
	ds_load_b128 v[16:19], v180 offset:3264
	s_wait_dscnt 0x0
	v_add_f64_e32 v[12:13], v[152:153], v[16:17]
	v_add_f64_e32 v[213:214], v[154:155], v[18:19]
	v_add_f64_e64 v[14:15], v[152:153], -v[16:17]
	v_add_f64_e64 v[215:216], v[154:155], -v[18:19]
	v_mul_f64_e32 v[203:204], s[12:13], v[205:206]
	v_mul_f64_e32 v[207:208], s[26:27], v[195:196]
	v_add_f64_e32 v[24:25], v[20:21], v[16:17]
	v_add_f64_e32 v[26:27], v[22:23], v[18:19]
	ds_load_b128 v[20:23], v180 offset:3536
	s_wait_dscnt 0x0
	v_add_f64_e32 v[16:17], v[148:149], v[20:21]
	v_add_f64_e32 v[36:37], v[150:151], v[22:23]
	v_add_f64_e64 v[18:19], v[148:149], -v[20:21]
	v_add_f64_e64 v[38:39], v[150:151], -v[22:23]
	v_mul_f64_e32 v[199:200], s[2:3], v[215:216]
	v_mul_f64_e32 v[201:202], s[16:17], v[213:214]
	;; [unrolled: 10-line block ×4, first 2 shown]
	v_add_f64_e32 v[40:41], v[40:41], v[30:31]
	v_add_f64_e32 v[42:43], v[42:43], v[32:33]
	ds_load_b128 v[30:33], v180 offset:4352
	global_wb scope:SCOPE_SE
	s_wait_dscnt 0x0
	s_barrier_signal -1
	s_barrier_wait -1
	global_inv scope:SCOPE_SE
	v_add_f64_e64 v[44:45], v[138:139], -v[32:33]
	v_add_f64_e32 v[46:47], v[136:137], v[30:31]
	v_add_f64_e32 v[48:49], v[138:139], v[32:33]
	v_add_f64_e64 v[50:51], v[136:137], -v[30:31]
	v_mul_f64_e32 v[185:186], s[36:37], v[223:224]
	v_mul_f64_e32 v[187:188], s[24:25], v[221:222]
	v_add_f64_e32 v[136:137], v[40:41], v[30:31]
	v_add_f64_e32 v[138:139], v[42:43], v[32:33]
	v_mul_f64_e32 v[30:31], s[38:39], v[44:45]
	v_mul_f64_e32 v[32:33], s[36:37], v[44:45]
	;; [unrolled: 1-line block ×11, first 2 shown]
	v_fma_f64 v[58:59], v[46:47], s[28:29], v[30:31]
	v_fma_f64 v[60:61], v[46:47], s[24:25], v[32:33]
	v_fma_f64 v[62:63], v[46:47], s[24:25], -v[32:33]
	v_fma_f64 v[64:65], v[46:47], s[20:21], v[40:41]
	v_fma_f64 v[40:41], v[46:47], s[20:21], -v[40:41]
	v_mul_f64_e32 v[32:33], s[28:29], v[48:49]
	v_fma_f64 v[66:67], v[46:47], s[14:15], v[42:43]
	v_fma_f64 v[42:43], v[46:47], s[14:15], -v[42:43]
	v_fma_f64 v[70:71], v[46:47], s[26:27], v[54:55]
	v_fma_f64 v[30:31], v[46:47], s[28:29], -v[30:31]
	;; [unrolled: 2-line block ×3, first 2 shown]
	v_fma_f64 v[54:55], v[46:47], s[26:27], -v[54:55]
	v_fma_f64 v[72:73], v[46:47], s[34:35], v[56:57]
	v_fma_f64 v[74:75], v[46:47], s[34:35], -v[56:57]
	v_fma_f64 v[76:77], v[46:47], s[42:43], v[44:45]
	v_fma_f64 v[78:79], v[46:47], s[42:43], -v[44:45]
	v_mul_f64_e32 v[44:45], s[24:25], v[48:49]
	v_mul_f64_e32 v[46:47], s[20:21], v[48:49]
	v_mul_f64_e32 v[56:57], s[14:15], v[48:49]
	v_mul_f64_e32 v[48:49], s[42:43], v[48:49]
	v_fma_f64 v[154:155], v[50:51], s[46:47], v[140:141]
	v_fma_f64 v[140:141], v[50:51], s[2:3], v[140:141]
	;; [unrolled: 1-line block ×6, first 2 shown]
	v_add_f64_e32 v[170:171], v[132:133], v[58:59]
	v_add_f64_e32 v[172:173], v[132:133], v[60:61]
	;; [unrolled: 1-line block ×5, first 2 shown]
	v_fma_f64 v[146:147], v[50:51], s[48:49], v[32:33]
	v_fma_f64 v[40:41], v[24:25], s[24:25], v[185:186]
	v_add_f64_e32 v[64:65], v[132:133], v[42:43]
	v_add_f64_e32 v[58:59], v[132:133], v[70:71]
	v_fma_f64 v[42:43], v[26:27], s[52:53], v[187:188]
	v_fma_f64 v[70:71], v[20:21], s[20:21], v[189:190]
	;; [unrolled: 1-line block ×3, first 2 shown]
	v_add_f64_e32 v[30:31], v[132:133], v[30:31]
	v_add_f64_e32 v[249:250], v[132:133], v[66:67]
	;; [unrolled: 1-line block ×5, first 2 shown]
	v_fma_f64 v[148:149], v[50:51], s[52:53], v[44:45]
	v_fma_f64 v[44:45], v[50:51], s[36:37], v[44:45]
	;; [unrolled: 1-line block ×8, first 2 shown]
	v_add_f64_e32 v[50:51], v[132:133], v[72:73]
	v_add_f64_e32 v[231:232], v[132:133], v[76:77]
	;; [unrolled: 1-line block ×7, first 2 shown]
	v_mul_f64_e32 v[78:79], s[12:13], v[219:220]
	v_mul_f64_e32 v[154:155], s[34:35], v[213:214]
	;; [unrolled: 1-line block ×3, first 2 shown]
	v_add_f64_e32 v[146:147], v[134:135], v[146:147]
	v_add_f64_e32 v[40:41], v[40:41], v[170:171]
	v_mul_f64_e32 v[170:171], s[48:49], v[34:35]
	v_add_f64_e32 v[32:33], v[134:135], v[32:33]
	v_add_f64_e32 v[148:149], v[134:135], v[148:149]
	;; [unrolled: 1-line block ×12, first 2 shown]
	v_mul_f64_e32 v[74:75], s[14:15], v[221:222]
	v_mul_f64_e32 v[152:153], s[50:51], v[215:216]
	;; [unrolled: 1-line block ×4, first 2 shown]
	v_fma_f64 v[140:141], v[20:21], s[26:27], v[78:79]
	v_mul_f64_e32 v[168:169], s[20:21], v[181:182]
	v_add_f64_e32 v[42:43], v[42:43], v[146:147]
	v_add_f64_e32 v[40:41], v[70:71], v[40:41]
	v_fma_f64 v[70:71], v[22:23], s[44:45], v[191:192]
	v_fma_f64 v[76:77], v[26:27], s[58:59], v[74:75]
	;; [unrolled: 1-line block ×3, first 2 shown]
	s_delay_alu instid0(VALU_DEP_3) | instskip(SKIP_1) | instid1(VALU_DEP_4)
	v_add_f64_e32 v[42:43], v[70:71], v[42:43]
	v_fma_f64 v[70:71], v[16:17], s[14:15], v[193:194]
	v_add_f64_e32 v[76:77], v[76:77], v[148:149]
	v_mul_f64_e32 v[148:149], s[42:43], v[36:37]
	v_add_f64_e32 v[74:75], v[74:75], v[176:177]
	v_mul_f64_e32 v[176:177], s[18:19], v[34:35]
	v_add_f64_e32 v[40:41], v[70:71], v[40:41]
	v_fma_f64 v[70:71], v[18:19], s[58:59], v[197:198]
	s_delay_alu instid0(VALU_DEP_1) | instskip(SKIP_1) | instid1(VALU_DEP_1)
	v_add_f64_e32 v[42:43], v[70:71], v[42:43]
	v_fma_f64 v[70:71], v[12:13], s[16:17], v[199:200]
	v_add_f64_e32 v[40:41], v[70:71], v[40:41]
	v_fma_f64 v[70:71], v[14:15], s[46:47], v[201:202]
	s_delay_alu instid0(VALU_DEP_1) | instskip(SKIP_1) | instid1(VALU_DEP_1)
	v_add_f64_e32 v[42:43], v[70:71], v[42:43]
	v_fma_f64 v[70:71], v[8:9], s[26:27], v[203:204]
	;; [unrolled: 5-line block ×3, first 2 shown]
	v_add_f64_e32 v[70:71], v[70:71], v[40:41]
	v_fma_f64 v[40:41], v[6:7], s[50:51], v[211:212]
	s_delay_alu instid0(VALU_DEP_1) | instskip(SKIP_1) | instid1(VALU_DEP_1)
	v_add_f64_e32 v[72:73], v[40:41], v[42:43]
	v_mul_f64_e32 v[40:41], s[40:41], v[34:35]
	v_fma_f64 v[42:43], v[0:1], s[42:43], v[40:41]
	s_delay_alu instid0(VALU_DEP_1) | instskip(SKIP_1) | instid1(VALU_DEP_1)
	v_add_f64_e32 v[132:133], v[42:43], v[70:71]
	v_mul_f64_e32 v[42:43], s[42:43], v[28:29]
	;; [unrolled: 4-line block ×3, first 2 shown]
	v_fma_f64 v[72:73], v[24:25], s[14:15], v[70:71]
	v_fma_f64 v[70:71], v[24:25], s[14:15], -v[70:71]
	s_delay_alu instid0(VALU_DEP_2) | instskip(NEXT) | instid1(VALU_DEP_2)
	v_add_f64_e32 v[72:73], v[72:73], v[172:173]
	v_add_f64_e32 v[70:71], v[70:71], v[174:175]
	v_mul_f64_e32 v[172:173], s[22:23], v[183:184]
	v_mul_f64_e32 v[174:175], s[14:15], v[181:182]
	s_delay_alu instid0(VALU_DEP_4) | instskip(SKIP_1) | instid1(VALU_DEP_1)
	v_add_f64_e32 v[72:73], v[140:141], v[72:73]
	v_mul_f64_e32 v[140:141], s[26:27], v[217:218]
	v_fma_f64 v[142:143], v[22:23], s[56:57], v[140:141]
	s_delay_alu instid0(VALU_DEP_1) | instskip(SKIP_1) | instid1(VALU_DEP_1)
	v_add_f64_e32 v[76:77], v[142:143], v[76:77]
	v_mul_f64_e32 v[142:143], s[40:41], v[38:39]
	v_fma_f64 v[144:145], v[16:17], s[42:43], v[142:143]
	s_delay_alu instid0(VALU_DEP_1) | instskip(SKIP_1) | instid1(VALU_DEP_1)
	v_add_f64_e32 v[72:73], v[144:145], v[72:73]
	v_fma_f64 v[144:145], v[18:19], s[54:55], v[148:149]
	v_add_f64_e32 v[76:77], v[144:145], v[76:77]
	v_fma_f64 v[144:145], v[12:13], s[34:35], v[152:153]
	s_delay_alu instid0(VALU_DEP_1) | instskip(SKIP_1) | instid1(VALU_DEP_1)
	v_add_f64_e32 v[72:73], v[144:145], v[72:73]
	v_fma_f64 v[144:145], v[14:15], s[18:19], v[154:155]
	v_add_f64_e32 v[76:77], v[144:145], v[76:77]
	v_fma_f64 v[144:145], v[8:9], s[16:17], v[158:159]
	s_delay_alu instid0(VALU_DEP_1) | instskip(SKIP_1) | instid1(VALU_DEP_1)
	v_add_f64_e32 v[72:73], v[144:145], v[72:73]
	v_fma_f64 v[144:145], v[10:11], s[2:3], v[160:161]
	v_add_f64_e32 v[76:77], v[144:145], v[76:77]
	v_fma_f64 v[144:145], v[4:5], s[20:21], v[162:163]
	s_delay_alu instid0(VALU_DEP_1) | instskip(SKIP_1) | instid1(VALU_DEP_1)
	v_add_f64_e32 v[72:73], v[144:145], v[72:73]
	v_fma_f64 v[144:145], v[6:7], s[30:31], v[168:169]
	v_add_f64_e32 v[76:77], v[144:145], v[76:77]
	v_fma_f64 v[144:145], v[0:1], s[28:29], v[170:171]
	s_delay_alu instid0(VALU_DEP_1) | instskip(SKIP_1) | instid1(VALU_DEP_1)
	v_add_f64_e32 v[144:145], v[144:145], v[72:73]
	v_mul_f64_e32 v[72:73], s[28:29], v[28:29]
	v_fma_f64 v[146:147], v[2:3], s[38:39], v[72:73]
	v_fma_f64 v[72:73], v[2:3], s[48:49], v[72:73]
	s_delay_alu instid0(VALU_DEP_2) | instskip(SKIP_2) | instid1(VALU_DEP_2)
	v_add_f64_e32 v[146:147], v[146:147], v[76:77]
	v_fma_f64 v[76:77], v[20:21], s[26:27], -v[78:79]
	v_mul_f64_e32 v[78:79], s[54:55], v[219:220]
	v_add_f64_e32 v[70:71], v[76:77], v[70:71]
	v_fma_f64 v[76:77], v[22:23], s[12:13], v[140:141]
	s_delay_alu instid0(VALU_DEP_1) | instskip(SKIP_1) | instid1(VALU_DEP_1)
	v_add_f64_e32 v[74:75], v[76:77], v[74:75]
	v_fma_f64 v[76:77], v[16:17], s[42:43], -v[142:143]
	v_add_f64_e32 v[70:71], v[76:77], v[70:71]
	v_fma_f64 v[76:77], v[18:19], s[40:41], v[148:149]
	v_fma_f64 v[148:149], v[20:21], s[42:43], v[78:79]
	s_delay_alu instid0(VALU_DEP_2) | instskip(SKIP_1) | instid1(VALU_DEP_1)
	v_add_f64_e32 v[74:75], v[76:77], v[74:75]
	v_fma_f64 v[76:77], v[12:13], s[34:35], -v[152:153]
	v_add_f64_e32 v[70:71], v[76:77], v[70:71]
	v_fma_f64 v[76:77], v[14:15], s[50:51], v[154:155]
	s_delay_alu instid0(VALU_DEP_1) | instskip(SKIP_2) | instid1(VALU_DEP_2)
	v_add_f64_e32 v[74:75], v[76:77], v[74:75]
	v_fma_f64 v[76:77], v[8:9], s[16:17], -v[158:159]
	v_mul_f64_e32 v[158:159], s[16:17], v[36:37]
	v_add_f64_e32 v[70:71], v[76:77], v[70:71]
	v_fma_f64 v[76:77], v[10:11], s[46:47], v[160:161]
	v_mul_f64_e32 v[160:161], s[52:53], v[215:216]
	s_delay_alu instid0(VALU_DEP_2) | instskip(SKIP_2) | instid1(VALU_DEP_2)
	v_add_f64_e32 v[74:75], v[76:77], v[74:75]
	v_fma_f64 v[76:77], v[4:5], s[20:21], -v[162:163]
	v_mul_f64_e32 v[162:163], s[24:25], v[213:214]
	v_add_f64_e32 v[70:71], v[76:77], v[70:71]
	v_fma_f64 v[76:77], v[6:7], s[44:45], v[168:169]
	v_mul_f64_e32 v[168:169], s[38:39], v[205:206]
	s_delay_alu instid0(VALU_DEP_2) | instskip(SKIP_2) | instid1(VALU_DEP_3)
	v_add_f64_e32 v[74:75], v[76:77], v[74:75]
	v_fma_f64 v[76:77], v[0:1], s[28:29], -v[170:171]
	v_mul_f64_e32 v[170:171], s[28:29], v[195:196]
	v_add_f64_e32 v[142:143], v[72:73], v[74:75]
	s_delay_alu instid0(VALU_DEP_3) | instskip(SKIP_2) | instid1(VALU_DEP_2)
	v_add_f64_e32 v[140:141], v[76:77], v[70:71]
	v_mul_f64_e32 v[70:71], s[12:13], v[223:224]
	v_mul_f64_e32 v[74:75], s[26:27], v[221:222]
	v_fma_f64 v[72:73], v[24:25], s[26:27], v[70:71]
	s_delay_alu instid0(VALU_DEP_2) | instskip(SKIP_2) | instid1(VALU_DEP_4)
	v_fma_f64 v[76:77], v[26:27], s[56:57], v[74:75]
	v_fma_f64 v[70:71], v[24:25], s[26:27], -v[70:71]
	v_fma_f64 v[74:75], v[26:27], s[12:13], v[74:75]
	v_add_f64_e32 v[72:73], v[72:73], v[178:179]
	s_delay_alu instid0(VALU_DEP_4) | instskip(NEXT) | instid1(VALU_DEP_4)
	v_add_f64_e32 v[76:77], v[76:77], v[150:151]
	v_add_f64_e32 v[70:71], v[70:71], v[245:246]
	s_delay_alu instid0(VALU_DEP_4)
	v_add_f64_e32 v[74:75], v[74:75], v[247:248]
	v_mul_f64_e32 v[178:179], s[34:35], v[195:196]
	v_mul_f64_e32 v[245:246], s[56:57], v[183:184]
	;; [unrolled: 1-line block ×3, first 2 shown]
	v_add_f64_e32 v[72:73], v[148:149], v[72:73]
	v_mul_f64_e32 v[148:149], s[42:43], v[217:218]
	s_delay_alu instid0(VALU_DEP_1) | instskip(NEXT) | instid1(VALU_DEP_1)
	v_fma_f64 v[150:151], v[22:23], s[40:41], v[148:149]
	v_add_f64_e32 v[76:77], v[150:151], v[76:77]
	v_mul_f64_e32 v[150:151], s[46:47], v[38:39]
	s_delay_alu instid0(VALU_DEP_1) | instskip(NEXT) | instid1(VALU_DEP_1)
	v_fma_f64 v[152:153], v[16:17], s[16:17], v[150:151]
	v_add_f64_e32 v[72:73], v[152:153], v[72:73]
	v_fma_f64 v[152:153], v[18:19], s[2:3], v[158:159]
	s_delay_alu instid0(VALU_DEP_1) | instskip(SKIP_1) | instid1(VALU_DEP_1)
	v_add_f64_e32 v[76:77], v[152:153], v[76:77]
	v_fma_f64 v[152:153], v[12:13], s[24:25], v[160:161]
	v_add_f64_e32 v[72:73], v[152:153], v[72:73]
	v_fma_f64 v[152:153], v[14:15], s[36:37], v[162:163]
	s_delay_alu instid0(VALU_DEP_1) | instskip(SKIP_1) | instid1(VALU_DEP_1)
	v_add_f64_e32 v[76:77], v[152:153], v[76:77]
	;; [unrolled: 5-line block ×4, first 2 shown]
	v_fma_f64 v[152:153], v[0:1], s[34:35], v[176:177]
	v_add_f64_e32 v[152:153], v[152:153], v[72:73]
	v_mul_f64_e32 v[72:73], s[34:35], v[28:29]
	s_delay_alu instid0(VALU_DEP_1) | instskip(SKIP_1) | instid1(VALU_DEP_2)
	v_fma_f64 v[154:155], v[2:3], s[50:51], v[72:73]
	v_fma_f64 v[72:73], v[2:3], s[18:19], v[72:73]
	v_add_f64_e32 v[154:155], v[154:155], v[76:77]
	v_fma_f64 v[76:77], v[20:21], s[42:43], -v[78:79]
	v_mul_f64_e32 v[78:79], s[46:47], v[219:220]
	s_delay_alu instid0(VALU_DEP_2) | instskip(SKIP_1) | instid1(VALU_DEP_1)
	v_add_f64_e32 v[70:71], v[76:77], v[70:71]
	v_fma_f64 v[76:77], v[22:23], s[54:55], v[148:149]
	v_add_f64_e32 v[74:75], v[76:77], v[74:75]
	v_fma_f64 v[76:77], v[16:17], s[16:17], -v[150:151]
	s_delay_alu instid0(VALU_DEP_1) | instskip(SKIP_2) | instid1(VALU_DEP_2)
	v_add_f64_e32 v[70:71], v[76:77], v[70:71]
	v_fma_f64 v[76:77], v[18:19], s[46:47], v[158:159]
	v_fma_f64 v[158:159], v[20:21], s[16:17], v[78:79]
	v_add_f64_e32 v[74:75], v[76:77], v[74:75]
	v_fma_f64 v[76:77], v[12:13], s[24:25], -v[160:161]
	s_delay_alu instid0(VALU_DEP_1) | instskip(SKIP_1) | instid1(VALU_DEP_1)
	v_add_f64_e32 v[70:71], v[76:77], v[70:71]
	v_fma_f64 v[76:77], v[14:15], s[52:53], v[162:163]
	v_add_f64_e32 v[74:75], v[76:77], v[74:75]
	v_fma_f64 v[76:77], v[8:9], s[28:29], -v[168:169]
	v_mul_f64_e32 v[168:169], s[48:49], v[38:39]
	s_delay_alu instid0(VALU_DEP_2) | instskip(SKIP_2) | instid1(VALU_DEP_2)
	v_add_f64_e32 v[70:71], v[76:77], v[70:71]
	v_fma_f64 v[76:77], v[10:11], s[38:39], v[170:171]
	v_mul_f64_e32 v[170:171], s[28:29], v[36:37]
	v_add_f64_e32 v[74:75], v[76:77], v[74:75]
	v_fma_f64 v[76:77], v[4:5], s[14:15], -v[172:173]
	v_mul_f64_e32 v[172:173], s[30:31], v[215:216]
	s_delay_alu instid0(VALU_DEP_2) | instskip(SKIP_2) | instid1(VALU_DEP_2)
	v_add_f64_e32 v[70:71], v[76:77], v[70:71]
	v_fma_f64 v[76:77], v[6:7], s[22:23], v[174:175]
	v_mul_f64_e32 v[174:175], s[20:21], v[213:214]
	v_add_f64_e32 v[74:75], v[76:77], v[74:75]
	v_fma_f64 v[76:77], v[0:1], s[34:35], -v[176:177]
	v_mul_f64_e32 v[176:177], s[18:19], v[205:206]
	s_delay_alu instid0(VALU_DEP_3) | instskip(NEXT) | instid1(VALU_DEP_3)
	v_add_f64_e32 v[150:151], v[72:73], v[74:75]
	v_add_f64_e32 v[148:149], v[76:77], v[70:71]
	v_mul_f64_e32 v[70:71], s[40:41], v[223:224]
	v_mul_f64_e32 v[74:75], s[42:43], v[221:222]
	s_delay_alu instid0(VALU_DEP_2) | instskip(NEXT) | instid1(VALU_DEP_2)
	v_fma_f64 v[72:73], v[24:25], s[42:43], v[70:71]
	v_fma_f64 v[76:77], v[26:27], s[54:55], v[74:75]
	v_fma_f64 v[70:71], v[24:25], s[42:43], -v[70:71]
	s_delay_alu instid0(VALU_DEP_3) | instskip(NEXT) | instid1(VALU_DEP_3)
	v_add_f64_e32 v[72:73], v[72:73], v[249:250]
	v_add_f64_e32 v[76:77], v[76:77], v[251:252]
	s_delay_alu instid0(VALU_DEP_3)
	v_add_f64_e32 v[64:65], v[70:71], v[64:65]
	v_fma_f64 v[70:71], v[26:27], s[40:41], v[74:75]
	v_fma_f64 v[74:75], v[20:21], s[16:17], -v[78:79]
	v_mul_f64_e32 v[249:250], s[52:53], v[34:35]
	v_add_f64_e32 v[72:73], v[158:159], v[72:73]
	v_mul_f64_e32 v[158:159], s[16:17], v[217:218]
	v_add_f64_e32 v[70:71], v[70:71], v[156:157]
	v_add_f64_e32 v[64:65], v[74:75], v[64:65]
	s_delay_alu instid0(VALU_DEP_3) | instskip(SKIP_1) | instid1(VALU_DEP_2)
	v_fma_f64 v[160:161], v[22:23], s[2:3], v[158:159]
	v_fma_f64 v[74:75], v[22:23], s[46:47], v[158:159]
	v_add_f64_e32 v[76:77], v[160:161], v[76:77]
	v_fma_f64 v[160:161], v[16:17], s[28:29], v[168:169]
	s_delay_alu instid0(VALU_DEP_3) | instskip(SKIP_1) | instid1(VALU_DEP_3)
	v_add_f64_e32 v[70:71], v[74:75], v[70:71]
	v_fma_f64 v[74:75], v[16:17], s[28:29], -v[168:169]
	v_add_f64_e32 v[72:73], v[160:161], v[72:73]
	v_fma_f64 v[160:161], v[18:19], s[38:39], v[170:171]
	s_delay_alu instid0(VALU_DEP_3) | instskip(SKIP_1) | instid1(VALU_DEP_3)
	v_add_f64_e32 v[64:65], v[74:75], v[64:65]
	v_fma_f64 v[74:75], v[18:19], s[48:49], v[170:171]
	v_add_f64_e32 v[76:77], v[160:161], v[76:77]
	v_fma_f64 v[160:161], v[12:13], s[20:21], v[172:173]
	s_delay_alu instid0(VALU_DEP_3) | instskip(SKIP_2) | instid1(VALU_DEP_4)
	v_add_f64_e32 v[70:71], v[74:75], v[70:71]
	v_fma_f64 v[74:75], v[12:13], s[20:21], -v[172:173]
	v_mul_f64_e32 v[172:173], s[40:41], v[215:216]
	v_add_f64_e32 v[72:73], v[160:161], v[72:73]
	v_fma_f64 v[160:161], v[14:15], s[44:45], v[174:175]
	s_delay_alu instid0(VALU_DEP_4) | instskip(SKIP_2) | instid1(VALU_DEP_4)
	v_add_f64_e32 v[64:65], v[74:75], v[64:65]
	v_fma_f64 v[74:75], v[14:15], s[30:31], v[174:175]
	v_mul_f64_e32 v[174:175], s[42:43], v[213:214]
	v_add_f64_e32 v[76:77], v[160:161], v[76:77]
	v_fma_f64 v[160:161], v[8:9], s[34:35], v[176:177]
	s_delay_alu instid0(VALU_DEP_4) | instskip(SKIP_2) | instid1(VALU_DEP_4)
	v_add_f64_e32 v[70:71], v[74:75], v[70:71]
	v_fma_f64 v[74:75], v[8:9], s[34:35], -v[176:177]
	v_mul_f64_e32 v[176:177], s[58:59], v[205:206]
	v_add_f64_e32 v[72:73], v[160:161], v[72:73]
	v_fma_f64 v[160:161], v[10:11], s[50:51], v[178:179]
	s_delay_alu instid0(VALU_DEP_4) | instskip(SKIP_2) | instid1(VALU_DEP_4)
	v_add_f64_e32 v[64:65], v[74:75], v[64:65]
	v_fma_f64 v[74:75], v[10:11], s[18:19], v[178:179]
	v_mul_f64_e32 v[178:179], s[14:15], v[195:196]
	v_add_f64_e32 v[76:77], v[160:161], v[76:77]
	v_fma_f64 v[160:161], v[4:5], s[26:27], v[245:246]
	s_delay_alu instid0(VALU_DEP_4) | instskip(SKIP_2) | instid1(VALU_DEP_4)
	;; [unrolled: 12-line block ×3, first 2 shown]
	v_add_f64_e32 v[70:71], v[74:75], v[70:71]
	v_fma_f64 v[74:75], v[0:1], s[24:25], -v[249:250]
	v_mul_f64_e32 v[249:250], s[12:13], v[34:35]
	v_add_f64_e32 v[160:161], v[160:161], v[72:73]
	v_mul_f64_e32 v[72:73], s[24:25], v[28:29]
	s_delay_alu instid0(VALU_DEP_4) | instskip(SKIP_1) | instid1(VALU_DEP_3)
	v_add_f64_e32 v[156:157], v[74:75], v[64:65]
	v_mul_f64_e32 v[64:65], s[50:51], v[223:224]
	v_fma_f64 v[162:163], v[2:3], s[36:37], v[72:73]
	v_fma_f64 v[72:73], v[2:3], s[52:53], v[72:73]
	s_delay_alu instid0(VALU_DEP_2) | instskip(NEXT) | instid1(VALU_DEP_2)
	v_add_f64_e32 v[162:163], v[162:163], v[76:77]
	v_add_f64_e32 v[158:159], v[72:73], v[70:71]
	v_fma_f64 v[70:71], v[24:25], s[34:35], v[64:65]
	v_mul_f64_e32 v[76:77], s[52:53], v[219:220]
	v_mul_f64_e32 v[72:73], s[34:35], v[221:222]
	v_fma_f64 v[64:65], v[24:25], s[34:35], -v[64:65]
	s_delay_alu instid0(VALU_DEP_4) | instskip(NEXT) | instid1(VALU_DEP_4)
	v_add_f64_e32 v[70:71], v[70:71], v[166:167]
	v_fma_f64 v[78:79], v[20:21], s[24:25], v[76:77]
	s_delay_alu instid0(VALU_DEP_4) | instskip(NEXT) | instid1(VALU_DEP_4)
	v_fma_f64 v[74:75], v[26:27], s[18:19], v[72:73]
	v_add_f64_e32 v[62:63], v[64:65], v[62:63]
	v_fma_f64 v[64:65], v[26:27], s[50:51], v[72:73]
	s_delay_alu instid0(VALU_DEP_4) | instskip(SKIP_2) | instid1(VALU_DEP_4)
	v_add_f64_e32 v[70:71], v[78:79], v[70:71]
	v_mul_f64_e32 v[78:79], s[24:25], v[217:218]
	v_add_f64_e32 v[74:75], v[74:75], v[164:165]
	v_add_f64_e32 v[60:61], v[64:65], v[60:61]
	v_fma_f64 v[64:65], v[20:21], s[24:25], -v[76:77]
	s_delay_alu instid0(VALU_DEP_4) | instskip(NEXT) | instid1(VALU_DEP_2)
	v_fma_f64 v[164:165], v[22:23], s[36:37], v[78:79]
	v_add_f64_e32 v[62:63], v[64:65], v[62:63]
	v_fma_f64 v[64:65], v[22:23], s[52:53], v[78:79]
	s_delay_alu instid0(VALU_DEP_3) | instskip(SKIP_1) | instid1(VALU_DEP_3)
	v_add_f64_e32 v[74:75], v[164:165], v[74:75]
	v_mul_f64_e32 v[164:165], s[30:31], v[38:39]
	v_add_f64_e32 v[60:61], v[64:65], v[60:61]
	s_delay_alu instid0(VALU_DEP_2) | instskip(SKIP_1) | instid1(VALU_DEP_2)
	v_fma_f64 v[166:167], v[16:17], s[20:21], v[164:165]
	v_fma_f64 v[64:65], v[16:17], s[20:21], -v[164:165]
	v_add_f64_e32 v[70:71], v[166:167], v[70:71]
	v_mul_f64_e32 v[166:167], s[20:21], v[36:37]
	s_delay_alu instid0(VALU_DEP_3) | instskip(NEXT) | instid1(VALU_DEP_2)
	v_add_f64_e32 v[62:63], v[64:65], v[62:63]
	v_fma_f64 v[168:169], v[18:19], s[44:45], v[166:167]
	v_fma_f64 v[64:65], v[18:19], s[30:31], v[166:167]
	s_delay_alu instid0(VALU_DEP_2) | instskip(SKIP_1) | instid1(VALU_DEP_3)
	v_add_f64_e32 v[74:75], v[168:169], v[74:75]
	v_fma_f64 v[168:169], v[12:13], s[42:43], v[172:173]
	v_add_f64_e32 v[60:61], v[64:65], v[60:61]
	v_fma_f64 v[64:65], v[12:13], s[42:43], -v[172:173]
	s_delay_alu instid0(VALU_DEP_3) | instskip(SKIP_1) | instid1(VALU_DEP_3)
	v_add_f64_e32 v[70:71], v[168:169], v[70:71]
	v_fma_f64 v[168:169], v[14:15], s[54:55], v[174:175]
	v_add_f64_e32 v[62:63], v[64:65], v[62:63]
	v_fma_f64 v[64:65], v[14:15], s[40:41], v[174:175]
	s_delay_alu instid0(VALU_DEP_3) | instskip(SKIP_1) | instid1(VALU_DEP_3)
	v_add_f64_e32 v[74:75], v[168:169], v[74:75]
	v_fma_f64 v[168:169], v[8:9], s[14:15], v[176:177]
	v_add_f64_e32 v[60:61], v[64:65], v[60:61]
	v_fma_f64 v[64:65], v[8:9], s[14:15], -v[176:177]
	v_mul_f64_e32 v[176:177], s[36:37], v[205:206]
	s_delay_alu instid0(VALU_DEP_4) | instskip(SKIP_1) | instid1(VALU_DEP_4)
	v_add_f64_e32 v[70:71], v[168:169], v[70:71]
	v_fma_f64 v[168:169], v[10:11], s[22:23], v[178:179]
	v_add_f64_e32 v[62:63], v[64:65], v[62:63]
	v_fma_f64 v[64:65], v[10:11], s[58:59], v[178:179]
	v_mul_f64_e32 v[178:179], s[24:25], v[195:196]
	s_delay_alu instid0(VALU_DEP_4) | instskip(SKIP_1) | instid1(VALU_DEP_4)
	v_add_f64_e32 v[74:75], v[168:169], v[74:75]
	v_fma_f64 v[168:169], v[4:5], s[28:29], v[245:246]
	v_add_f64_e32 v[60:61], v[64:65], v[60:61]
	v_fma_f64 v[64:65], v[4:5], s[28:29], -v[245:246]
	v_mul_f64_e32 v[245:246], s[40:41], v[183:184]
	s_delay_alu instid0(VALU_DEP_4) | instskip(SKIP_1) | instid1(VALU_DEP_4)
	v_add_f64_e32 v[70:71], v[168:169], v[70:71]
	v_fma_f64 v[168:169], v[6:7], s[48:49], v[247:248]
	v_add_f64_e32 v[62:63], v[64:65], v[62:63]
	v_fma_f64 v[64:65], v[6:7], s[38:39], v[247:248]
	v_mul_f64_e32 v[247:248], s[42:43], v[181:182]
	s_delay_alu instid0(VALU_DEP_4) | instskip(SKIP_1) | instid1(VALU_DEP_4)
	v_add_f64_e32 v[74:75], v[168:169], v[74:75]
	v_fma_f64 v[168:169], v[0:1], s[26:27], v[249:250]
	v_add_f64_e32 v[60:61], v[64:65], v[60:61]
	v_fma_f64 v[64:65], v[0:1], s[26:27], -v[249:250]
	v_mul_f64_e32 v[249:250], s[44:45], v[34:35]
	s_delay_alu instid0(VALU_DEP_4) | instskip(SKIP_1) | instid1(VALU_DEP_4)
	v_add_f64_e32 v[168:169], v[168:169], v[70:71]
	v_mul_f64_e32 v[70:71], s[26:27], v[28:29]
	v_add_f64_e32 v[164:165], v[64:65], v[62:63]
	s_delay_alu instid0(VALU_DEP_2) | instskip(SKIP_1) | instid1(VALU_DEP_2)
	v_fma_f64 v[170:171], v[2:3], s[56:57], v[70:71]
	v_fma_f64 v[70:71], v[2:3], s[12:13], v[70:71]
	v_add_f64_e32 v[170:171], v[170:171], v[74:75]
	s_delay_alu instid0(VALU_DEP_2) | instskip(SKIP_1) | instid1(VALU_DEP_1)
	v_add_f64_e32 v[166:167], v[70:71], v[60:61]
	v_mul_f64_e32 v[60:61], s[46:47], v[223:224]
	v_fma_f64 v[62:63], v[24:25], s[16:17], v[60:61]
	s_delay_alu instid0(VALU_DEP_1) | instskip(SKIP_1) | instid1(VALU_DEP_1)
	v_add_f64_e32 v[58:59], v[62:63], v[58:59]
	v_mul_f64_e32 v[62:63], s[16:17], v[221:222]
	v_fma_f64 v[64:65], v[26:27], s[2:3], v[62:63]
	s_delay_alu instid0(VALU_DEP_1) | instskip(SKIP_1) | instid1(VALU_DEP_1)
	;; [unrolled: 4-line block ×8, first 2 shown]
	v_add_f64_e32 v[56:57], v[172:173], v[56:57]
	v_fma_f64 v[172:173], v[8:9], s[24:25], v[176:177]
	v_add_f64_e32 v[58:59], v[172:173], v[58:59]
	v_fma_f64 v[172:173], v[10:11], s[52:53], v[178:179]
	s_delay_alu instid0(VALU_DEP_1) | instskip(SKIP_1) | instid1(VALU_DEP_1)
	v_add_f64_e32 v[56:57], v[172:173], v[56:57]
	v_fma_f64 v[172:173], v[4:5], s[42:43], v[245:246]
	v_add_f64_e32 v[58:59], v[172:173], v[58:59]
	v_fma_f64 v[172:173], v[6:7], s[54:55], v[247:248]
	s_delay_alu instid0(VALU_DEP_1) | instskip(SKIP_1) | instid1(VALU_DEP_1)
	v_add_f64_e32 v[56:57], v[172:173], v[56:57]
	v_fma_f64 v[172:173], v[0:1], s[20:21], v[249:250]
	v_add_f64_e32 v[172:173], v[172:173], v[58:59]
	v_mul_f64_e32 v[58:59], s[20:21], v[28:29]
	s_delay_alu instid0(VALU_DEP_1) | instskip(SKIP_1) | instid1(VALU_DEP_2)
	v_fma_f64 v[174:175], v[2:3], s[30:31], v[58:59]
	v_fma_f64 v[58:59], v[2:3], s[44:45], v[58:59]
	v_add_f64_e32 v[174:175], v[174:175], v[56:57]
	v_fma_f64 v[56:57], v[24:25], s[16:17], -v[60:61]
	s_delay_alu instid0(VALU_DEP_1) | instskip(SKIP_1) | instid1(VALU_DEP_1)
	v_add_f64_e32 v[54:55], v[56:57], v[54:55]
	v_fma_f64 v[56:57], v[26:27], s[46:47], v[62:63]
	v_add_f64_e32 v[52:53], v[56:57], v[52:53]
	v_fma_f64 v[56:57], v[20:21], s[28:29], -v[64:65]
	s_delay_alu instid0(VALU_DEP_1) | instskip(SKIP_1) | instid1(VALU_DEP_1)
	v_add_f64_e32 v[54:55], v[56:57], v[54:55]
	;; [unrolled: 5-line block ×5, first 2 shown]
	v_fma_f64 v[56:57], v[10:11], s[36:37], v[178:179]
	v_add_f64_e32 v[52:53], v[56:57], v[52:53]
	v_fma_f64 v[56:57], v[4:5], s[42:43], -v[245:246]
	s_delay_alu instid0(VALU_DEP_1) | instskip(SKIP_2) | instid1(VALU_DEP_2)
	v_add_f64_e32 v[54:55], v[56:57], v[54:55]
	v_fma_f64 v[56:57], v[6:7], s[40:41], v[247:248]
	v_mul_f64_e32 v[247:248], s[2:3], v[34:35]
	v_add_f64_e32 v[52:53], v[56:57], v[52:53]
	v_fma_f64 v[56:57], v[0:1], s[20:21], -v[249:250]
	v_mul_f64_e32 v[249:250], s[16:17], v[28:29]
	v_mul_f64_e32 v[28:29], s[14:15], v[28:29]
	s_delay_alu instid0(VALU_DEP_4) | instskip(SKIP_2) | instid1(VALU_DEP_2)
	v_add_f64_e32 v[178:179], v[58:59], v[52:53]
	v_mul_f64_e32 v[52:53], s[44:45], v[223:224]
	v_add_f64_e32 v[176:177], v[56:57], v[54:55]
	v_fma_f64 v[54:55], v[24:25], s[20:21], v[52:53]
	v_fma_f64 v[52:53], v[24:25], s[20:21], -v[52:53]
	s_delay_alu instid0(VALU_DEP_2) | instskip(SKIP_1) | instid1(VALU_DEP_3)
	v_add_f64_e32 v[50:51], v[54:55], v[50:51]
	v_mul_f64_e32 v[54:55], s[20:21], v[221:222]
	v_add_f64_e32 v[46:47], v[52:53], v[46:47]
	s_delay_alu instid0(VALU_DEP_2) | instskip(SKIP_2) | instid1(VALU_DEP_3)
	v_fma_f64 v[56:57], v[26:27], s[30:31], v[54:55]
	v_fma_f64 v[52:53], v[26:27], s[44:45], v[54:55]
	;; [unrolled: 1-line block ×3, first 2 shown]
	v_add_f64_e32 v[48:49], v[56:57], v[48:49]
	v_mul_f64_e32 v[56:57], s[22:23], v[219:220]
	s_delay_alu instid0(VALU_DEP_4) | instskip(NEXT) | instid1(VALU_DEP_2)
	v_add_f64_e32 v[44:45], v[52:53], v[44:45]
	v_fma_f64 v[58:59], v[20:21], s[14:15], v[56:57]
	v_fma_f64 v[52:53], v[20:21], s[14:15], -v[56:57]
	v_mul_f64_e32 v[56:57], s[28:29], v[221:222]
	s_delay_alu instid0(VALU_DEP_3) | instskip(SKIP_1) | instid1(VALU_DEP_4)
	v_add_f64_e32 v[50:51], v[58:59], v[50:51]
	v_mul_f64_e32 v[58:59], s[14:15], v[217:218]
	v_add_f64_e32 v[46:47], v[52:53], v[46:47]
	s_delay_alu instid0(VALU_DEP_2) | instskip(SKIP_2) | instid1(VALU_DEP_3)
	v_fma_f64 v[60:61], v[22:23], s[58:59], v[58:59]
	v_fma_f64 v[52:53], v[22:23], s[22:23], v[58:59]
	;; [unrolled: 1-line block ×3, first 2 shown]
	v_add_f64_e32 v[48:49], v[60:61], v[48:49]
	v_mul_f64_e32 v[60:61], s[56:57], v[38:39]
	s_delay_alu instid0(VALU_DEP_4) | instskip(NEXT) | instid1(VALU_DEP_4)
	v_add_f64_e32 v[44:45], v[52:53], v[44:45]
	v_add_f64_e32 v[58:59], v[58:59], v[229:230]
	v_mul_f64_e32 v[38:39], s[52:53], v[38:39]
	s_delay_alu instid0(VALU_DEP_4) | instskip(SKIP_2) | instid1(VALU_DEP_3)
	v_fma_f64 v[62:63], v[16:17], s[26:27], v[60:61]
	v_fma_f64 v[52:53], v[16:17], s[26:27], -v[60:61]
	v_mul_f64_e32 v[60:61], s[18:19], v[219:220]
	v_add_f64_e32 v[50:51], v[62:63], v[50:51]
	v_mul_f64_e32 v[62:63], s[26:27], v[36:37]
	s_delay_alu instid0(VALU_DEP_4) | instskip(NEXT) | instid1(VALU_DEP_2)
	v_add_f64_e32 v[46:47], v[52:53], v[46:47]
	v_fma_f64 v[64:65], v[18:19], s[12:13], v[62:63]
	v_fma_f64 v[52:53], v[18:19], s[56:57], v[62:63]
	;; [unrolled: 1-line block ×3, first 2 shown]
	s_delay_alu instid0(VALU_DEP_3) | instskip(SKIP_1) | instid1(VALU_DEP_4)
	v_add_f64_e32 v[48:49], v[64:65], v[48:49]
	v_mul_f64_e32 v[64:65], s[38:39], v[215:216]
	v_add_f64_e32 v[44:45], v[52:53], v[44:45]
	s_delay_alu instid0(VALU_DEP_2) | instskip(SKIP_1) | instid1(VALU_DEP_2)
	v_fma_f64 v[70:71], v[12:13], s[28:29], v[64:65]
	v_fma_f64 v[52:53], v[12:13], s[28:29], -v[64:65]
	v_add_f64_e32 v[50:51], v[70:71], v[50:51]
	v_mul_f64_e32 v[70:71], s[28:29], v[213:214]
	s_delay_alu instid0(VALU_DEP_3) | instskip(NEXT) | instid1(VALU_DEP_2)
	v_add_f64_e32 v[46:47], v[52:53], v[46:47]
	v_fma_f64 v[72:73], v[14:15], s[48:49], v[70:71]
	v_fma_f64 v[52:53], v[14:15], s[38:39], v[70:71]
	s_delay_alu instid0(VALU_DEP_2) | instskip(SKIP_1) | instid1(VALU_DEP_3)
	v_add_f64_e32 v[48:49], v[72:73], v[48:49]
	v_mul_f64_e32 v[72:73], s[40:41], v[205:206]
	v_add_f64_e32 v[44:45], v[52:53], v[44:45]
	s_delay_alu instid0(VALU_DEP_2) | instskip(SKIP_1) | instid1(VALU_DEP_2)
	v_fma_f64 v[74:75], v[8:9], s[42:43], v[72:73]
	v_fma_f64 v[52:53], v[8:9], s[42:43], -v[72:73]
	v_add_f64_e32 v[50:51], v[74:75], v[50:51]
	v_mul_f64_e32 v[74:75], s[42:43], v[195:196]
	s_delay_alu instid0(VALU_DEP_3) | instskip(NEXT) | instid1(VALU_DEP_2)
	v_add_f64_e32 v[46:47], v[52:53], v[46:47]
	v_fma_f64 v[76:77], v[10:11], s[54:55], v[74:75]
	v_fma_f64 v[52:53], v[10:11], s[40:41], v[74:75]
	s_delay_alu instid0(VALU_DEP_2) | instskip(SKIP_1) | instid1(VALU_DEP_3)
	;; [unrolled: 13-line block ×3, first 2 shown]
	v_add_f64_e32 v[52:53], v[52:53], v[44:45]
	v_fma_f64 v[44:45], v[0:1], s[16:17], -v[247:248]
	v_add_f64_e32 v[245:246], v[245:246], v[48:49]
	v_fma_f64 v[48:49], v[0:1], s[16:17], v[247:248]
	s_delay_alu instid0(VALU_DEP_3) | instskip(SKIP_2) | instid1(VALU_DEP_4)
	v_add_f64_e32 v[44:45], v[44:45], v[46:47]
	v_add_f64_e32 v[46:47], v[54:55], v[52:53]
	v_mul_f64_e32 v[52:53], s[48:49], v[223:224]
	v_add_f64_e32 v[48:49], v[48:49], v[50:51]
	v_fma_f64 v[50:51], v[2:3], s[46:47], v[249:250]
	s_delay_alu instid0(VALU_DEP_3) | instskip(SKIP_2) | instid1(VALU_DEP_4)
	v_fma_f64 v[54:55], v[24:25], s[28:29], v[52:53]
	v_fma_f64 v[52:53], v[24:25], s[28:29], -v[52:53]
	v_fma_f64 v[24:25], v[24:25], s[24:25], -v[185:186]
	v_add_f64_e32 v[50:51], v[50:51], v[245:246]
	s_delay_alu instid0(VALU_DEP_4) | instskip(NEXT) | instid1(VALU_DEP_4)
	v_add_f64_e32 v[54:55], v[54:55], v[231:232]
	v_add_f64_e32 v[52:53], v[52:53], v[68:69]
	s_delay_alu instid0(VALU_DEP_4) | instskip(NEXT) | instid1(VALU_DEP_3)
	v_add_f64_e32 v[24:25], v[24:25], v[30:31]
	v_add_f64_e32 v[54:55], v[62:63], v[54:55]
	v_mul_f64_e32 v[62:63], s[34:35], v[217:218]
	s_delay_alu instid0(VALU_DEP_1) | instskip(NEXT) | instid1(VALU_DEP_1)
	v_fma_f64 v[64:65], v[22:23], s[50:51], v[62:63]
	v_add_f64_e32 v[58:59], v[64:65], v[58:59]
	v_fma_f64 v[64:65], v[16:17], s[24:25], v[38:39]
	v_fma_f64 v[38:39], v[16:17], s[24:25], -v[38:39]
	v_fma_f64 v[16:17], v[16:17], s[14:15], -v[193:194]
	s_delay_alu instid0(VALU_DEP_3) | instskip(SKIP_1) | instid1(VALU_DEP_1)
	v_add_f64_e32 v[54:55], v[64:65], v[54:55]
	v_mul_f64_e32 v[64:65], s[24:25], v[36:37]
	v_fma_f64 v[36:37], v[18:19], s[36:37], v[64:65]
	s_delay_alu instid0(VALU_DEP_1) | instskip(SKIP_1) | instid1(VALU_DEP_1)
	v_add_f64_e32 v[36:37], v[36:37], v[58:59]
	v_mul_f64_e32 v[58:59], s[12:13], v[215:216]
	v_fma_f64 v[70:71], v[12:13], s[26:27], v[58:59]
	s_delay_alu instid0(VALU_DEP_1) | instskip(SKIP_1) | instid1(VALU_DEP_1)
	;; [unrolled: 4-line block ×7, first 2 shown]
	v_add_f64_e32 v[36:37], v[181:182], v[36:37]
	v_mul_f64_e32 v[181:182], s[58:59], v[34:35]
	v_fma_f64 v[34:35], v[0:1], s[14:15], v[181:182]
	s_delay_alu instid0(VALU_DEP_1) | instskip(SKIP_3) | instid1(VALU_DEP_3)
	v_add_f64_e32 v[34:35], v[34:35], v[54:55]
	v_fma_f64 v[54:55], v[2:3], s[22:23], v[28:29]
	v_fma_f64 v[28:29], v[2:3], s[58:59], v[28:29]
	;; [unrolled: 1-line block ×3, first 2 shown]
	v_add_f64_e32 v[36:37], v[54:55], v[36:37]
	v_fma_f64 v[54:55], v[26:27], s[48:49], v[56:57]
	v_fma_f64 v[56:57], v[20:21], s[34:35], -v[60:61]
	v_fma_f64 v[26:27], v[26:27], s[36:37], v[187:188]
	v_fma_f64 v[20:21], v[20:21], s[20:21], -v[189:190]
	s_delay_alu instid0(VALU_DEP_4) | instskip(NEXT) | instid1(VALU_DEP_4)
	v_add_f64_e32 v[54:55], v[54:55], v[66:67]
	v_add_f64_e32 v[52:53], v[56:57], v[52:53]
	v_fma_f64 v[56:57], v[22:23], s[18:19], v[62:63]
	v_fma_f64 v[22:23], v[22:23], s[30:31], v[191:192]
	v_add_f64_e32 v[26:27], v[26:27], v[32:33]
	v_add_f64_e32 v[20:21], v[20:21], v[24:25]
	;; [unrolled: 1-line block ×4, first 2 shown]
	v_fma_f64 v[52:53], v[18:19], s[52:53], v[64:65]
	v_fma_f64 v[18:19], v[18:19], s[22:23], v[197:198]
	v_add_f64_e32 v[22:23], v[22:23], v[26:27]
	v_add_f64_e32 v[16:17], v[16:17], v[20:21]
	s_delay_alu instid0(VALU_DEP_4) | instskip(SKIP_3) | instid1(VALU_DEP_3)
	v_add_f64_e32 v[52:53], v[52:53], v[54:55]
	v_fma_f64 v[54:55], v[12:13], s[26:27], -v[58:59]
	v_fma_f64 v[12:13], v[12:13], s[16:17], -v[199:200]
	v_add_f64_e32 v[18:19], v[18:19], v[22:23]
	v_add_f64_e32 v[38:39], v[54:55], v[38:39]
	v_fma_f64 v[54:55], v[14:15], s[12:13], v[70:71]
	v_fma_f64 v[14:15], v[14:15], s[2:3], v[201:202]
	v_add_f64_e32 v[12:13], v[12:13], v[16:17]
	s_delay_alu instid0(VALU_DEP_3) | instskip(SKIP_3) | instid1(VALU_DEP_3)
	v_add_f64_e32 v[52:53], v[54:55], v[52:53]
	v_fma_f64 v[54:55], v[8:9], s[20:21], -v[72:73]
	v_fma_f64 v[8:9], v[8:9], s[26:27], -v[203:204]
	v_add_f64_e32 v[14:15], v[14:15], v[18:19]
	v_add_f64_e32 v[38:39], v[54:55], v[38:39]
	v_fma_f64 v[54:55], v[10:11], s[44:45], v[74:75]
	v_fma_f64 v[10:11], v[10:11], s[12:13], v[207:208]
	v_add_f64_e32 v[8:9], v[8:9], v[12:13]
	s_delay_alu instid0(VALU_DEP_3) | instskip(SKIP_3) | instid1(VALU_DEP_3)
	v_add_f64_e32 v[52:53], v[54:55], v[52:53]
	v_fma_f64 v[54:55], v[4:5], s[16:17], -v[76:77]
	v_fma_f64 v[4:5], v[4:5], s[34:35], -v[209:210]
	v_add_f64_e32 v[10:11], v[10:11], v[14:15]
	v_add_f64_e32 v[38:39], v[54:55], v[38:39]
	v_fma_f64 v[54:55], v[6:7], s[2:3], v[78:79]
	v_fma_f64 v[6:7], v[6:7], s[18:19], v[211:212]
	v_add_f64_e32 v[4:5], v[4:5], v[8:9]
	s_delay_alu instid0(VALU_DEP_3) | instskip(SKIP_3) | instid1(VALU_DEP_4)
	v_add_f64_e32 v[54:55], v[54:55], v[52:53]
	v_fma_f64 v[52:53], v[0:1], s[14:15], -v[181:182]
	v_fma_f64 v[0:1], v[0:1], s[42:43], -v[40:41]
	v_add_f64_e32 v[6:7], v[6:7], v[10:11]
	v_add_f64_e32 v[54:55], v[28:29], v[54:55]
	s_delay_alu instid0(VALU_DEP_4) | instskip(NEXT) | instid1(VALU_DEP_4)
	v_add_f64_e32 v[52:53], v[52:53], v[38:39]
	v_add_f64_e32 v[0:1], v[0:1], v[4:5]
	s_delay_alu instid0(VALU_DEP_4)
	v_add_f64_e32 v[2:3], v[2:3], v[6:7]
	ds_store_b128 v255, v[132:135] offset:16
	ds_store_b128 v255, v[144:147] offset:32
	;; [unrolled: 1-line block ×16, first 2 shown]
	ds_store_b128 v255, v[136:139]
	global_wb scope:SCOPE_SE
	s_wait_dscnt 0x0
	s_barrier_signal -1
	s_barrier_wait -1
	global_inv scope:SCOPE_SE
	ds_load_b128 v[0:3], v180 offset:272
	ds_load_b128 v[6:9], v180 offset:816
	;; [unrolled: 1-line block ×8, first 2 shown]
	s_wait_dscnt 0x7
	v_mul_f64_e32 v[4:5], v[235:236], v[2:3]
	s_delay_alu instid0(VALU_DEP_1) | instskip(SKIP_1) | instid1(VALU_DEP_1)
	v_fma_f64 v[38:39], v[233:234], v[0:1], v[4:5]
	v_mul_f64_e32 v[0:1], v[235:236], v[0:1]
	v_fma_f64 v[44:45], v[233:234], v[2:3], -v[0:1]
	ds_load_b128 v[2:5], v180 offset:544
	s_wait_dscnt 0x0
	v_mul_f64_e32 v[0:1], v[239:240], v[4:5]
	s_delay_alu instid0(VALU_DEP_1) | instskip(SKIP_1) | instid1(VALU_DEP_1)
	v_fma_f64 v[0:1], v[237:238], v[2:3], v[0:1]
	v_mul_f64_e32 v[2:3], v[239:240], v[2:3]
	v_fma_f64 v[2:3], v[237:238], v[4:5], -v[2:3]
	v_mul_f64_e32 v[4:5], v[227:228], v[8:9]
	s_delay_alu instid0(VALU_DEP_1) | instskip(SKIP_1) | instid1(VALU_DEP_1)
	v_fma_f64 v[4:5], v[225:226], v[6:7], v[4:5]
	v_mul_f64_e32 v[6:7], v[227:228], v[6:7]
	v_fma_f64 v[6:7], v[225:226], v[8:9], -v[6:7]
	;; [unrolled: 5-line block ×7, first 2 shown]
	v_mul_f64_e32 v[28:29], v[102:103], v[32:33]
	s_delay_alu instid0(VALU_DEP_1) | instskip(SKIP_1) | instid1(VALU_DEP_2)
	v_fma_f64 v[28:29], v[100:101], v[30:31], v[28:29]
	v_mul_f64_e32 v[30:31], v[102:103], v[30:31]
	v_add_f64_e32 v[183:184], v[24:25], v[28:29]
	s_delay_alu instid0(VALU_DEP_2)
	v_fma_f64 v[30:31], v[100:101], v[32:33], -v[30:31]
	ds_load_b128 v[32:35], v180 offset:2720
	s_wait_dscnt 0x0
	v_mul_f64_e32 v[36:37], v[106:107], v[34:35]
	v_add_f64_e64 v[205:206], v[26:27], -v[30:31]
	v_add_f64_e32 v[209:210], v[26:27], v[30:31]
	s_delay_alu instid0(VALU_DEP_3) | instskip(SKIP_1) | instid1(VALU_DEP_4)
	v_fma_f64 v[76:77], v[104:105], v[32:33], v[36:37]
	v_mul_f64_e32 v[32:33], v[106:107], v[32:33]
	v_mul_f64_e32 v[207:208], s[40:41], v[205:206]
	s_delay_alu instid0(VALU_DEP_4) | instskip(NEXT) | instid1(VALU_DEP_4)
	v_mul_f64_e32 v[211:212], s[42:43], v[209:210]
	v_add_f64_e32 v[168:169], v[20:21], v[76:77]
	s_delay_alu instid0(VALU_DEP_4)
	v_fma_f64 v[78:79], v[104:105], v[34:35], -v[32:33]
	ds_load_b128 v[32:35], v180 offset:2992
	v_add_f64_e64 v[170:171], v[20:21], -v[76:77]
	s_wait_dscnt 0x0
	v_mul_f64_e32 v[36:37], v[110:111], v[34:35]
	v_add_f64_e64 v[176:177], v[22:23], -v[78:79]
	v_add_f64_e32 v[178:179], v[22:23], v[78:79]
	s_delay_alu instid0(VALU_DEP_3) | instskip(SKIP_1) | instid1(VALU_DEP_4)
	v_fma_f64 v[80:81], v[108:109], v[32:33], v[36:37]
	v_mul_f64_e32 v[32:33], v[110:111], v[32:33]
	v_mul_f64_e32 v[201:202], s[18:19], v[176:177]
	s_delay_alu instid0(VALU_DEP_4) | instskip(NEXT) | instid1(VALU_DEP_3)
	v_mul_f64_e32 v[203:204], s[34:35], v[178:179]
	v_fma_f64 v[82:83], v[108:109], v[34:35], -v[32:33]
	ds_load_b128 v[32:35], v180 offset:3264
	s_wait_dscnt 0x0
	v_mul_f64_e32 v[36:37], v[114:115], v[34:35]
	v_add_f64_e64 v[158:159], v[18:19], -v[82:83]
	v_add_f64_e32 v[162:163], v[18:19], v[82:83]
	s_delay_alu instid0(VALU_DEP_3) | instskip(SKIP_1) | instid1(VALU_DEP_4)
	v_fma_f64 v[84:85], v[112:113], v[32:33], v[36:37]
	v_mul_f64_e32 v[32:33], v[114:115], v[32:33]
	v_mul_f64_e32 v[197:198], s[12:13], v[158:159]
	s_delay_alu instid0(VALU_DEP_4) | instskip(NEXT) | instid1(VALU_DEP_3)
	v_mul_f64_e32 v[199:200], s[26:27], v[162:163]
	v_fma_f64 v[86:87], v[112:113], v[34:35], -v[32:33]
	ds_load_b128 v[32:35], v180 offset:3536
	s_wait_dscnt 0x0
	v_mul_f64_e32 v[36:37], v[122:123], v[34:35]
	s_delay_alu instid0(VALU_DEP_1) | instskip(SKIP_1) | instid1(VALU_DEP_1)
	v_fma_f64 v[88:89], v[120:121], v[32:33], v[36:37]
	v_mul_f64_e32 v[32:33], v[122:123], v[32:33]
	v_fma_f64 v[90:91], v[120:121], v[34:35], -v[32:33]
	ds_load_b128 v[32:35], v180 offset:3808
	s_wait_dscnt 0x0
	v_mul_f64_e32 v[36:37], v[126:127], v[34:35]
	s_delay_alu instid0(VALU_DEP_1) | instskip(SKIP_1) | instid1(VALU_DEP_1)
	v_fma_f64 v[92:93], v[124:125], v[32:33], v[36:37]
	;; [unrolled: 7-line block ×3, first 2 shown]
	v_mul_f64_e32 v[32:33], v[130:131], v[32:33]
	v_fma_f64 v[98:99], v[128:129], v[34:35], -v[32:33]
	ds_load_b128 v[34:37], v180 offset:4352
	s_wait_dscnt 0x0
	v_mul_f64_e32 v[32:33], v[118:119], v[34:35]
	s_delay_alu instid0(VALU_DEP_1) | instskip(SKIP_1) | instid1(VALU_DEP_1)
	v_fma_f64 v[32:33], v[116:117], v[36:37], -v[32:33]
	v_mul_f64_e32 v[36:37], v[118:119], v[36:37]
	v_fma_f64 v[34:35], v[116:117], v[34:35], v[36:37]
	s_delay_alu instid0(VALU_DEP_3) | instskip(NEXT) | instid1(VALU_DEP_2)
	v_add_f64_e64 v[36:37], v[44:45], -v[32:33]
	v_add_f64_e32 v[56:57], v[38:39], v[34:35]
	s_delay_alu instid0(VALU_DEP_2)
	v_mul_f64_e32 v[40:41], s[38:39], v[36:37]
	v_mul_f64_e32 v[42:43], s[36:37], v[36:37]
	;; [unrolled: 1-line block ×8, first 2 shown]
	v_add_f64_e64 v[112:113], v[38:39], -v[34:35]
	v_fma_f64 v[58:59], v[56:57], s[28:29], v[40:41]
	v_fma_f64 v[62:63], v[56:57], s[24:25], v[42:43]
	v_fma_f64 v[64:65], v[56:57], s[24:25], -v[42:43]
	v_fma_f64 v[60:61], v[56:57], s[28:29], -v[40:41]
	v_fma_f64 v[66:67], v[56:57], s[20:21], v[46:47]
	v_fma_f64 v[100:101], v[56:57], s[26:27], v[52:53]
	v_fma_f64 v[52:53], v[56:57], s[26:27], -v[52:53]
	v_fma_f64 v[104:105], v[56:57], s[42:43], v[36:37]
	v_fma_f64 v[106:107], v[56:57], s[42:43], -v[36:37]
	v_add_f64_e32 v[36:37], v[44:45], v[32:33]
	v_fma_f64 v[46:47], v[56:57], s[20:21], -v[46:47]
	v_fma_f64 v[68:69], v[56:57], s[14:15], v[48:49]
	v_fma_f64 v[48:49], v[56:57], s[14:15], -v[48:49]
	v_fma_f64 v[70:71], v[56:57], s[16:17], v[50:51]
	;; [unrolled: 2-line block ×3, first 2 shown]
	v_fma_f64 v[54:55], v[56:57], s[34:35], -v[54:55]
	v_mul_f64_e32 v[42:43], s[24:25], v[36:37]
	v_mul_f64_e32 v[40:41], s[28:29], v[36:37]
	v_mul_f64_e32 v[56:57], s[20:21], v[36:37]
	v_mul_f64_e32 v[72:73], s[14:15], v[36:37]
	v_mul_f64_e32 v[74:75], s[16:17], v[36:37]
	v_mul_f64_e32 v[108:109], s[26:27], v[36:37]
	v_mul_f64_e32 v[110:111], s[34:35], v[36:37]
	v_mul_f64_e32 v[36:37], s[42:43], v[36:37]
	v_fma_f64 v[118:119], v[112:113], s[52:53], v[42:43]
	v_fma_f64 v[114:115], v[112:113], s[48:49], v[40:41]
	v_fma_f64 v[116:117], v[112:113], s[38:39], v[40:41]
	v_fma_f64 v[120:121], v[112:113], s[36:37], v[42:43]
	ds_load_b128 v[40:43], v180
	v_fma_f64 v[122:123], v[112:113], s[44:45], v[56:57]
	v_fma_f64 v[56:57], v[112:113], s[30:31], v[56:57]
	;; [unrolled: 1-line block ×12, first 2 shown]
	s_wait_dscnt 0x0
	v_add_f64_e32 v[36:37], v[40:41], v[38:39]
	v_add_f64_e32 v[38:39], v[42:43], v[44:45]
	;; [unrolled: 1-line block ×16, first 2 shown]
	v_add_f64_e64 v[52:53], v[2:3], -v[98:99]
	v_add_f64_e32 v[114:115], v[42:43], v[114:115]
	v_add_f64_e32 v[72:73], v[42:43], v[116:117]
	;; [unrolled: 1-line block ×16, first 2 shown]
	v_add_f64_e64 v[112:113], v[6:7], -v[94:95]
	v_add_f64_e32 v[50:51], v[40:41], v[104:105]
	v_add_f64_e32 v[104:105], v[4:5], v[92:93]
	;; [unrolled: 1-line block ×5, first 2 shown]
	v_add_f64_e64 v[106:107], v[4:5], -v[92:93]
	v_add_f64_e64 v[128:129], v[10:11], -v[90:91]
	v_add_f64_e32 v[124:125], v[8:9], v[88:89]
	v_add_f64_e32 v[130:131], v[10:11], v[90:91]
	v_add_f64_e64 v[126:127], v[8:9], -v[88:89]
	v_add_f64_e64 v[144:145], v[14:15], -v[86:87]
	v_mul_f64_e32 v[64:65], s[24:25], v[54:55]
	v_add_f64_e32 v[136:137], v[12:13], v[84:85]
	v_add_f64_e32 v[146:147], v[14:15], v[86:87]
	v_add_f64_e64 v[138:139], v[12:13], -v[84:85]
	v_add_f64_e32 v[2:3], v[38:39], v[2:3]
	v_mul_f64_e32 v[181:182], s[36:37], v[52:53]
	v_mul_f64_e32 v[185:186], s[30:31], v[112:113]
	;; [unrolled: 1-line block ×6, first 2 shown]
	v_add_f64_e32 v[2:3], v[2:3], v[6:7]
	v_fma_f64 v[46:47], v[44:45], s[24:25], v[181:182]
	v_fma_f64 v[181:182], v[44:45], s[24:25], -v[181:182]
	v_fma_f64 v[68:69], v[104:105], s[20:21], v[185:186]
	s_delay_alu instid0(VALU_DEP_4) | instskip(NEXT) | instid1(VALU_DEP_4)
	v_add_f64_e32 v[2:3], v[2:3], v[10:11]
	v_add_f64_e32 v[60:61], v[46:47], v[156:157]
	v_add_f64_e64 v[46:47], v[0:1], -v[96:97]
	v_add_f64_e32 v[74:75], v[181:182], v[74:75]
	v_add_f64_e32 v[156:157], v[16:17], v[80:81]
	;; [unrolled: 1-line block ×5, first 2 shown]
	v_fma_f64 v[66:67], v[46:47], s[52:53], v[64:65]
	v_fma_f64 v[64:65], v[46:47], s[36:37], v[64:65]
	v_add_f64_e32 v[0:1], v[0:1], v[4:5]
	v_add_f64_e32 v[2:3], v[2:3], v[18:19]
	s_delay_alu instid0(VALU_DEP_4)
	v_add_f64_e32 v[66:67], v[66:67], v[114:115]
	v_add_f64_e32 v[114:115], v[6:7], v[94:95]
	;; [unrolled: 1-line block ×3, first 2 shown]
	v_fma_f64 v[72:73], v[104:105], s[20:21], -v[185:186]
	v_add_f64_e32 v[0:1], v[0:1], v[8:9]
	v_add_f64_e32 v[2:3], v[2:3], v[22:23]
	v_mul_f64_e32 v[187:188], s[20:21], v[114:115]
	s_delay_alu instid0(VALU_DEP_4) | instskip(NEXT) | instid1(VALU_DEP_4)
	v_add_f64_e32 v[72:73], v[72:73], v[74:75]
	v_add_f64_e32 v[0:1], v[0:1], v[12:13]
	s_delay_alu instid0(VALU_DEP_4) | instskip(NEXT) | instid1(VALU_DEP_4)
	v_add_f64_e32 v[2:3], v[2:3], v[26:27]
	v_fma_f64 v[68:69], v[106:107], s[44:45], v[187:188]
	v_fma_f64 v[74:75], v[106:107], s[30:31], v[187:188]
	s_delay_alu instid0(VALU_DEP_4) | instskip(NEXT) | instid1(VALU_DEP_4)
	v_add_f64_e32 v[0:1], v[0:1], v[16:17]
	v_add_f64_e32 v[2:3], v[2:3], v[30:31]
	s_delay_alu instid0(VALU_DEP_4)
	v_add_f64_e32 v[66:67], v[68:69], v[66:67]
	v_fma_f64 v[68:69], v[124:125], s[14:15], v[189:190]
	v_add_f64_e32 v[64:65], v[74:75], v[64:65]
	v_fma_f64 v[74:75], v[124:125], s[14:15], -v[189:190]
	v_add_f64_e32 v[0:1], v[0:1], v[20:21]
	v_add_f64_e32 v[2:3], v[2:3], v[78:79]
	;; [unrolled: 1-line block ×3, first 2 shown]
	v_fma_f64 v[68:69], v[126:127], s[58:59], v[191:192]
	v_add_f64_e32 v[72:73], v[74:75], v[72:73]
	v_fma_f64 v[74:75], v[126:127], s[22:23], v[191:192]
	v_add_f64_e32 v[0:1], v[0:1], v[24:25]
	v_add_f64_e32 v[2:3], v[2:3], v[82:83]
	;; [unrolled: 1-line block ×3, first 2 shown]
	v_fma_f64 v[68:69], v[136:137], s[16:17], v[193:194]
	v_add_f64_e32 v[64:65], v[74:75], v[64:65]
	v_fma_f64 v[74:75], v[136:137], s[16:17], -v[193:194]
	v_add_f64_e32 v[0:1], v[0:1], v[28:29]
	v_add_f64_e32 v[2:3], v[2:3], v[86:87]
	;; [unrolled: 1-line block ×3, first 2 shown]
	v_fma_f64 v[68:69], v[138:139], s[46:47], v[195:196]
	v_add_f64_e32 v[72:73], v[74:75], v[72:73]
	v_fma_f64 v[74:75], v[138:139], s[2:3], v[195:196]
	v_add_f64_e32 v[0:1], v[0:1], v[76:77]
	v_add_f64_e32 v[2:3], v[2:3], v[90:91]
	;; [unrolled: 1-line block ×3, first 2 shown]
	v_fma_f64 v[68:69], v[156:157], s[26:27], v[197:198]
	v_add_f64_e32 v[64:65], v[74:75], v[64:65]
	v_fma_f64 v[74:75], v[156:157], s[26:27], -v[197:198]
	v_add_f64_e32 v[0:1], v[0:1], v[80:81]
	v_add_f64_e32 v[2:3], v[2:3], v[94:95]
	;; [unrolled: 1-line block ×3, first 2 shown]
	v_add_f64_e64 v[60:61], v[16:17], -v[80:81]
	v_add_f64_e32 v[72:73], v[74:75], v[72:73]
	v_add_f64_e32 v[0:1], v[0:1], v[84:85]
	;; [unrolled: 1-line block ×3, first 2 shown]
	s_delay_alu instid0(VALU_DEP_4) | instskip(SKIP_1) | instid1(VALU_DEP_4)
	v_fma_f64 v[70:71], v[60:61], s[56:57], v[199:200]
	v_fma_f64 v[74:75], v[60:61], s[12:13], v[199:200]
	v_add_f64_e32 v[0:1], v[0:1], v[88:89]
	s_delay_alu instid0(VALU_DEP_4) | instskip(NEXT) | instid1(VALU_DEP_4)
	v_add_f64_e32 v[2:3], v[2:3], v[32:33]
	v_add_f64_e32 v[66:67], v[70:71], v[66:67]
	v_fma_f64 v[70:71], v[168:169], s[34:35], v[201:202]
	v_add_f64_e32 v[64:65], v[74:75], v[64:65]
	v_fma_f64 v[74:75], v[168:169], s[34:35], -v[201:202]
	v_add_f64_e32 v[0:1], v[0:1], v[92:93]
	s_delay_alu instid0(VALU_DEP_4) | instskip(SKIP_1) | instid1(VALU_DEP_4)
	v_add_f64_e32 v[68:69], v[70:71], v[68:69]
	v_fma_f64 v[70:71], v[170:171], s[50:51], v[203:204]
	v_add_f64_e32 v[72:73], v[74:75], v[72:73]
	v_fma_f64 v[74:75], v[170:171], s[18:19], v[203:204]
	v_add_f64_e32 v[0:1], v[0:1], v[96:97]
	s_delay_alu instid0(VALU_DEP_4) | instskip(SKIP_1) | instid1(VALU_DEP_4)
	v_add_f64_e32 v[70:71], v[70:71], v[66:67]
	v_fma_f64 v[66:67], v[183:184], s[42:43], v[207:208]
	v_add_f64_e32 v[64:65], v[74:75], v[64:65]
	v_fma_f64 v[74:75], v[183:184], s[42:43], -v[207:208]
	v_add_f64_e32 v[0:1], v[0:1], v[34:35]
	s_delay_alu instid0(VALU_DEP_4) | instskip(SKIP_1) | instid1(VALU_DEP_4)
	v_add_f64_e32 v[68:69], v[66:67], v[68:69]
	v_add_f64_e64 v[66:67], v[24:25], -v[28:29]
	v_add_f64_e32 v[72:73], v[74:75], v[72:73]
	s_delay_alu instid0(VALU_DEP_2) | instskip(SKIP_2) | instid1(VALU_DEP_3)
	v_fma_f64 v[181:182], v[66:67], s[40:41], v[211:212]
	v_fma_f64 v[213:214], v[66:67], s[54:55], v[211:212]
	v_mul_f64_e32 v[211:212], s[48:49], v[205:206]
	v_add_f64_e32 v[74:75], v[181:182], v[64:65]
	v_mul_f64_e32 v[64:65], s[22:23], v[52:53]
	s_delay_alu instid0(VALU_DEP_4) | instskip(SKIP_1) | instid1(VALU_DEP_3)
	v_add_f64_e32 v[70:71], v[213:214], v[70:71]
	v_mul_f64_e32 v[213:214], s[28:29], v[209:210]
	v_fma_f64 v[181:182], v[44:45], s[14:15], v[64:65]
	v_fma_f64 v[64:65], v[44:45], s[14:15], -v[64:65]
	s_delay_alu instid0(VALU_DEP_2) | instskip(SKIP_1) | instid1(VALU_DEP_3)
	v_add_f64_e32 v[174:175], v[181:182], v[174:175]
	v_mul_f64_e32 v[181:182], s[14:15], v[54:55]
	v_add_f64_e32 v[64:65], v[64:65], v[166:167]
	s_delay_alu instid0(VALU_DEP_2) | instskip(SKIP_2) | instid1(VALU_DEP_3)
	v_fma_f64 v[185:186], v[46:47], s[58:59], v[181:182]
	v_fma_f64 v[166:167], v[46:47], s[22:23], v[181:182]
	v_fma_f64 v[181:182], v[66:67], s[48:49], v[213:214]
	v_add_f64_e32 v[172:173], v[185:186], v[172:173]
	v_mul_f64_e32 v[185:186], s[12:13], v[112:113]
	s_delay_alu instid0(VALU_DEP_4) | instskip(NEXT) | instid1(VALU_DEP_2)
	v_add_f64_e32 v[164:165], v[166:167], v[164:165]
	v_fma_f64 v[187:188], v[104:105], s[26:27], v[185:186]
	v_fma_f64 v[166:167], v[104:105], s[26:27], -v[185:186]
	s_delay_alu instid0(VALU_DEP_2) | instskip(SKIP_1) | instid1(VALU_DEP_3)
	v_add_f64_e32 v[174:175], v[187:188], v[174:175]
	v_mul_f64_e32 v[187:188], s[26:27], v[114:115]
	v_add_f64_e32 v[64:65], v[166:167], v[64:65]
	s_delay_alu instid0(VALU_DEP_2) | instskip(SKIP_1) | instid1(VALU_DEP_2)
	v_fma_f64 v[189:190], v[106:107], s[56:57], v[187:188]
	v_fma_f64 v[166:167], v[106:107], s[12:13], v[187:188]
	v_add_f64_e32 v[172:173], v[189:190], v[172:173]
	v_mul_f64_e32 v[189:190], s[40:41], v[128:129]
	s_delay_alu instid0(VALU_DEP_3) | instskip(NEXT) | instid1(VALU_DEP_2)
	v_add_f64_e32 v[164:165], v[166:167], v[164:165]
	v_fma_f64 v[191:192], v[124:125], s[42:43], v[189:190]
	v_fma_f64 v[166:167], v[124:125], s[42:43], -v[189:190]
	s_delay_alu instid0(VALU_DEP_2) | instskip(SKIP_1) | instid1(VALU_DEP_3)
	v_add_f64_e32 v[174:175], v[191:192], v[174:175]
	v_mul_f64_e32 v[191:192], s[42:43], v[130:131]
	v_add_f64_e32 v[64:65], v[166:167], v[64:65]
	s_delay_alu instid0(VALU_DEP_2) | instskip(SKIP_1) | instid1(VALU_DEP_2)
	v_fma_f64 v[193:194], v[126:127], s[54:55], v[191:192]
	v_fma_f64 v[166:167], v[126:127], s[40:41], v[191:192]
	v_add_f64_e32 v[172:173], v[193:194], v[172:173]
	v_mul_f64_e32 v[193:194], s[50:51], v[144:145]
	s_delay_alu instid0(VALU_DEP_3) | instskip(NEXT) | instid1(VALU_DEP_2)
	;; [unrolled: 13-line block ×4, first 2 shown]
	v_add_f64_e32 v[164:165], v[166:167], v[164:165]
	v_fma_f64 v[203:204], v[168:169], s[20:21], v[201:202]
	v_fma_f64 v[166:167], v[168:169], s[20:21], -v[201:202]
	s_delay_alu instid0(VALU_DEP_2) | instskip(SKIP_1) | instid1(VALU_DEP_3)
	v_add_f64_e32 v[174:175], v[203:204], v[174:175]
	v_mul_f64_e32 v[203:204], s[20:21], v[178:179]
	v_add_f64_e32 v[64:65], v[166:167], v[64:65]
	s_delay_alu instid0(VALU_DEP_2) | instskip(SKIP_1) | instid1(VALU_DEP_2)
	v_fma_f64 v[166:167], v[170:171], s[44:45], v[203:204]
	v_fma_f64 v[207:208], v[170:171], s[30:31], v[203:204]
	v_add_f64_e32 v[166:167], v[166:167], v[164:165]
	v_fma_f64 v[164:165], v[183:184], s[28:29], -v[211:212]
	s_delay_alu instid0(VALU_DEP_3)
	v_add_f64_e32 v[207:208], v[207:208], v[172:173]
	v_fma_f64 v[172:173], v[183:184], s[28:29], v[211:212]
	v_mul_f64_e32 v[211:212], s[18:19], v[205:206]
	v_add_f64_e32 v[166:167], v[181:182], v[166:167]
	v_mul_f64_e32 v[181:182], s[12:13], v[52:53]
	v_add_f64_e32 v[164:165], v[164:165], v[64:65]
	v_add_f64_e32 v[172:173], v[172:173], v[174:175]
	v_fma_f64 v[174:175], v[66:67], s[38:39], v[213:214]
	v_mul_f64_e32 v[213:214], s[34:35], v[209:210]
	v_fma_f64 v[64:65], v[44:45], s[26:27], v[181:182]
	v_fma_f64 v[181:182], v[44:45], s[26:27], -v[181:182]
	s_delay_alu instid0(VALU_DEP_4) | instskip(NEXT) | instid1(VALU_DEP_3)
	v_add_f64_e32 v[174:175], v[174:175], v[207:208]
	v_add_f64_e32 v[64:65], v[64:65], v[160:161]
	v_mul_f64_e32 v[160:161], s[26:27], v[54:55]
	s_delay_alu instid0(VALU_DEP_4) | instskip(SKIP_1) | instid1(VALU_DEP_3)
	v_add_f64_e32 v[154:155], v[181:182], v[154:155]
	v_fma_f64 v[181:182], v[66:67], s[18:19], v[213:214]
	v_fma_f64 v[185:186], v[46:47], s[56:57], v[160:161]
	v_fma_f64 v[160:161], v[46:47], s[12:13], v[160:161]
	s_delay_alu instid0(VALU_DEP_2) | instskip(SKIP_1) | instid1(VALU_DEP_3)
	v_add_f64_e32 v[62:63], v[185:186], v[62:63]
	v_mul_f64_e32 v[185:186], s[54:55], v[112:113]
	v_add_f64_e32 v[152:153], v[160:161], v[152:153]
	s_delay_alu instid0(VALU_DEP_2) | instskip(SKIP_1) | instid1(VALU_DEP_2)
	v_fma_f64 v[187:188], v[104:105], s[42:43], v[185:186]
	v_fma_f64 v[160:161], v[104:105], s[42:43], -v[185:186]
	v_add_f64_e32 v[64:65], v[187:188], v[64:65]
	v_mul_f64_e32 v[187:188], s[42:43], v[114:115]
	s_delay_alu instid0(VALU_DEP_3) | instskip(NEXT) | instid1(VALU_DEP_2)
	v_add_f64_e32 v[154:155], v[160:161], v[154:155]
	v_fma_f64 v[189:190], v[106:107], s[40:41], v[187:188]
	v_fma_f64 v[160:161], v[106:107], s[54:55], v[187:188]
	s_delay_alu instid0(VALU_DEP_2) | instskip(SKIP_1) | instid1(VALU_DEP_3)
	v_add_f64_e32 v[62:63], v[189:190], v[62:63]
	v_mul_f64_e32 v[189:190], s[46:47], v[128:129]
	v_add_f64_e32 v[152:153], v[160:161], v[152:153]
	s_delay_alu instid0(VALU_DEP_2) | instskip(SKIP_1) | instid1(VALU_DEP_2)
	v_fma_f64 v[191:192], v[124:125], s[16:17], v[189:190]
	v_fma_f64 v[160:161], v[124:125], s[16:17], -v[189:190]
	v_add_f64_e32 v[64:65], v[191:192], v[64:65]
	v_mul_f64_e32 v[191:192], s[16:17], v[130:131]
	s_delay_alu instid0(VALU_DEP_3) | instskip(NEXT) | instid1(VALU_DEP_2)
	v_add_f64_e32 v[154:155], v[160:161], v[154:155]
	v_fma_f64 v[193:194], v[126:127], s[2:3], v[191:192]
	v_fma_f64 v[160:161], v[126:127], s[46:47], v[191:192]
	;; [unrolled: 13-line block ×5, first 2 shown]
	s_delay_alu instid0(VALU_DEP_2) | instskip(SKIP_1) | instid1(VALU_DEP_3)
	v_add_f64_e32 v[160:161], v[160:161], v[152:153]
	v_fma_f64 v[152:153], v[183:184], s[34:35], -v[211:212]
	v_add_f64_e32 v[207:208], v[207:208], v[62:63]
	v_fma_f64 v[62:63], v[183:184], s[34:35], v[211:212]
	v_mul_f64_e32 v[211:212], s[52:53], v[205:206]
	s_delay_alu instid0(VALU_DEP_4)
	v_add_f64_e32 v[152:153], v[152:153], v[154:155]
	v_add_f64_e32 v[154:155], v[181:182], v[160:161]
	v_mul_f64_e32 v[160:161], s[40:41], v[52:53]
	v_add_f64_e32 v[62:63], v[62:63], v[64:65]
	v_fma_f64 v[64:65], v[66:67], s[50:51], v[213:214]
	v_mul_f64_e32 v[213:214], s[24:25], v[209:210]
	s_delay_alu instid0(VALU_DEP_4) | instskip(SKIP_1) | instid1(VALU_DEP_4)
	v_fma_f64 v[181:182], v[44:45], s[42:43], v[160:161]
	v_fma_f64 v[160:161], v[44:45], s[42:43], -v[160:161]
	v_add_f64_e32 v[64:65], v[64:65], v[207:208]
	s_delay_alu instid0(VALU_DEP_3) | instskip(SKIP_1) | instid1(VALU_DEP_4)
	v_add_f64_e32 v[150:151], v[181:182], v[150:151]
	v_mul_f64_e32 v[181:182], s[42:43], v[54:55]
	v_add_f64_e32 v[142:143], v[160:161], v[142:143]
	s_delay_alu instid0(VALU_DEP_2) | instskip(SKIP_2) | instid1(VALU_DEP_3)
	v_fma_f64 v[185:186], v[46:47], s[54:55], v[181:182]
	v_fma_f64 v[160:161], v[46:47], s[40:41], v[181:182]
	;; [unrolled: 1-line block ×3, first 2 shown]
	v_add_f64_e32 v[148:149], v[185:186], v[148:149]
	v_mul_f64_e32 v[185:186], s[46:47], v[112:113]
	s_delay_alu instid0(VALU_DEP_4) | instskip(NEXT) | instid1(VALU_DEP_2)
	v_add_f64_e32 v[140:141], v[160:161], v[140:141]
	v_fma_f64 v[187:188], v[104:105], s[16:17], v[185:186]
	v_fma_f64 v[160:161], v[104:105], s[16:17], -v[185:186]
	s_delay_alu instid0(VALU_DEP_2) | instskip(SKIP_1) | instid1(VALU_DEP_3)
	v_add_f64_e32 v[150:151], v[187:188], v[150:151]
	v_mul_f64_e32 v[187:188], s[16:17], v[114:115]
	v_add_f64_e32 v[142:143], v[160:161], v[142:143]
	s_delay_alu instid0(VALU_DEP_2) | instskip(SKIP_1) | instid1(VALU_DEP_2)
	v_fma_f64 v[189:190], v[106:107], s[2:3], v[187:188]
	v_fma_f64 v[160:161], v[106:107], s[46:47], v[187:188]
	v_add_f64_e32 v[148:149], v[189:190], v[148:149]
	v_mul_f64_e32 v[189:190], s[48:49], v[128:129]
	s_delay_alu instid0(VALU_DEP_3) | instskip(NEXT) | instid1(VALU_DEP_2)
	v_add_f64_e32 v[140:141], v[160:161], v[140:141]
	v_fma_f64 v[191:192], v[124:125], s[28:29], v[189:190]
	v_fma_f64 v[160:161], v[124:125], s[28:29], -v[189:190]
	s_delay_alu instid0(VALU_DEP_2) | instskip(SKIP_1) | instid1(VALU_DEP_3)
	v_add_f64_e32 v[150:151], v[191:192], v[150:151]
	v_mul_f64_e32 v[191:192], s[28:29], v[130:131]
	v_add_f64_e32 v[142:143], v[160:161], v[142:143]
	s_delay_alu instid0(VALU_DEP_2) | instskip(SKIP_1) | instid1(VALU_DEP_2)
	v_fma_f64 v[193:194], v[126:127], s[38:39], v[191:192]
	v_fma_f64 v[160:161], v[126:127], s[48:49], v[191:192]
	v_add_f64_e32 v[148:149], v[193:194], v[148:149]
	v_mul_f64_e32 v[193:194], s[30:31], v[144:145]
	s_delay_alu instid0(VALU_DEP_3) | instskip(NEXT) | instid1(VALU_DEP_2)
	;; [unrolled: 13-line block ×4, first 2 shown]
	v_add_f64_e32 v[140:141], v[160:161], v[140:141]
	v_fma_f64 v[203:204], v[168:169], s[26:27], v[201:202]
	v_fma_f64 v[160:161], v[168:169], s[26:27], -v[201:202]
	s_delay_alu instid0(VALU_DEP_2) | instskip(SKIP_1) | instid1(VALU_DEP_3)
	v_add_f64_e32 v[150:151], v[203:204], v[150:151]
	v_mul_f64_e32 v[203:204], s[26:27], v[178:179]
	v_add_f64_e32 v[142:143], v[160:161], v[142:143]
	s_delay_alu instid0(VALU_DEP_2) | instskip(SKIP_1) | instid1(VALU_DEP_2)
	v_fma_f64 v[160:161], v[170:171], s[56:57], v[203:204]
	v_fma_f64 v[207:208], v[170:171], s[12:13], v[203:204]
	v_add_f64_e32 v[160:161], v[160:161], v[140:141]
	v_fma_f64 v[140:141], v[183:184], s[24:25], -v[211:212]
	s_delay_alu instid0(VALU_DEP_3) | instskip(SKIP_2) | instid1(VALU_DEP_4)
	v_add_f64_e32 v[207:208], v[207:208], v[148:149]
	v_fma_f64 v[148:149], v[183:184], s[24:25], v[211:212]
	v_mul_f64_e32 v[211:212], s[12:13], v[205:206]
	v_add_f64_e32 v[140:141], v[140:141], v[142:143]
	v_add_f64_e32 v[142:143], v[181:182], v[160:161]
	v_mul_f64_e32 v[160:161], s[50:51], v[52:53]
	v_add_f64_e32 v[148:149], v[148:149], v[150:151]
	v_fma_f64 v[150:151], v[66:67], s[36:37], v[213:214]
	v_mul_f64_e32 v[213:214], s[26:27], v[209:210]
	s_delay_alu instid0(VALU_DEP_4) | instskip(SKIP_1) | instid1(VALU_DEP_4)
	v_fma_f64 v[181:182], v[44:45], s[34:35], v[160:161]
	v_fma_f64 v[160:161], v[44:45], s[34:35], -v[160:161]
	v_add_f64_e32 v[150:151], v[150:151], v[207:208]
	s_delay_alu instid0(VALU_DEP_3) | instskip(SKIP_1) | instid1(VALU_DEP_4)
	v_add_f64_e32 v[134:135], v[181:182], v[134:135]
	v_mul_f64_e32 v[181:182], s[34:35], v[54:55]
	v_add_f64_e32 v[58:59], v[160:161], v[58:59]
	s_delay_alu instid0(VALU_DEP_2) | instskip(SKIP_2) | instid1(VALU_DEP_3)
	v_fma_f64 v[185:186], v[46:47], s[18:19], v[181:182]
	v_fma_f64 v[160:161], v[46:47], s[50:51], v[181:182]
	;; [unrolled: 1-line block ×3, first 2 shown]
	v_add_f64_e32 v[132:133], v[185:186], v[132:133]
	v_mul_f64_e32 v[185:186], s[52:53], v[112:113]
	s_delay_alu instid0(VALU_DEP_4) | instskip(NEXT) | instid1(VALU_DEP_2)
	v_add_f64_e32 v[56:57], v[160:161], v[56:57]
	v_fma_f64 v[187:188], v[104:105], s[24:25], v[185:186]
	v_fma_f64 v[160:161], v[104:105], s[24:25], -v[185:186]
	s_delay_alu instid0(VALU_DEP_2) | instskip(SKIP_1) | instid1(VALU_DEP_3)
	v_add_f64_e32 v[134:135], v[187:188], v[134:135]
	v_mul_f64_e32 v[187:188], s[24:25], v[114:115]
	v_add_f64_e32 v[58:59], v[160:161], v[58:59]
	s_delay_alu instid0(VALU_DEP_2) | instskip(SKIP_1) | instid1(VALU_DEP_2)
	v_fma_f64 v[189:190], v[106:107], s[36:37], v[187:188]
	v_fma_f64 v[160:161], v[106:107], s[52:53], v[187:188]
	v_add_f64_e32 v[132:133], v[189:190], v[132:133]
	v_mul_f64_e32 v[189:190], s[30:31], v[128:129]
	s_delay_alu instid0(VALU_DEP_3) | instskip(NEXT) | instid1(VALU_DEP_2)
	v_add_f64_e32 v[56:57], v[160:161], v[56:57]
	v_fma_f64 v[191:192], v[124:125], s[20:21], v[189:190]
	v_fma_f64 v[160:161], v[124:125], s[20:21], -v[189:190]
	s_delay_alu instid0(VALU_DEP_2) | instskip(SKIP_1) | instid1(VALU_DEP_3)
	v_add_f64_e32 v[134:135], v[191:192], v[134:135]
	v_mul_f64_e32 v[191:192], s[20:21], v[130:131]
	v_add_f64_e32 v[58:59], v[160:161], v[58:59]
	s_delay_alu instid0(VALU_DEP_2) | instskip(SKIP_1) | instid1(VALU_DEP_2)
	v_fma_f64 v[193:194], v[126:127], s[44:45], v[191:192]
	v_fma_f64 v[160:161], v[126:127], s[30:31], v[191:192]
	v_add_f64_e32 v[132:133], v[193:194], v[132:133]
	v_mul_f64_e32 v[193:194], s[40:41], v[144:145]
	s_delay_alu instid0(VALU_DEP_3) | instskip(NEXT) | instid1(VALU_DEP_2)
	;; [unrolled: 13-line block ×4, first 2 shown]
	v_add_f64_e32 v[56:57], v[160:161], v[56:57]
	v_fma_f64 v[203:204], v[168:169], s[28:29], v[201:202]
	v_fma_f64 v[160:161], v[168:169], s[28:29], -v[201:202]
	s_delay_alu instid0(VALU_DEP_2) | instskip(SKIP_1) | instid1(VALU_DEP_3)
	v_add_f64_e32 v[134:135], v[203:204], v[134:135]
	v_mul_f64_e32 v[203:204], s[28:29], v[178:179]
	v_add_f64_e32 v[58:59], v[160:161], v[58:59]
	s_delay_alu instid0(VALU_DEP_2) | instskip(SKIP_1) | instid1(VALU_DEP_2)
	v_fma_f64 v[160:161], v[170:171], s[38:39], v[203:204]
	v_fma_f64 v[207:208], v[170:171], s[48:49], v[203:204]
	v_add_f64_e32 v[160:161], v[160:161], v[56:57]
	v_fma_f64 v[56:57], v[183:184], s[26:27], -v[211:212]
	s_delay_alu instid0(VALU_DEP_3) | instskip(SKIP_2) | instid1(VALU_DEP_4)
	v_add_f64_e32 v[207:208], v[207:208], v[132:133]
	v_fma_f64 v[132:133], v[183:184], s[26:27], v[211:212]
	v_mul_f64_e32 v[211:212], s[44:45], v[205:206]
	v_add_f64_e32 v[56:57], v[56:57], v[58:59]
	v_add_f64_e32 v[58:59], v[181:182], v[160:161]
	v_mul_f64_e32 v[160:161], s[46:47], v[52:53]
	v_add_f64_e32 v[132:133], v[132:133], v[134:135]
	v_fma_f64 v[134:135], v[66:67], s[56:57], v[213:214]
	v_mul_f64_e32 v[213:214], s[20:21], v[209:210]
	s_delay_alu instid0(VALU_DEP_4) | instskip(SKIP_1) | instid1(VALU_DEP_4)
	v_fma_f64 v[181:182], v[44:45], s[16:17], v[160:161]
	v_fma_f64 v[160:161], v[44:45], s[16:17], -v[160:161]
	v_add_f64_e32 v[134:135], v[134:135], v[207:208]
	s_delay_alu instid0(VALU_DEP_3) | instskip(SKIP_1) | instid1(VALU_DEP_4)
	v_add_f64_e32 v[122:123], v[181:182], v[122:123]
	v_mul_f64_e32 v[181:182], s[16:17], v[54:55]
	v_add_f64_e32 v[118:119], v[160:161], v[118:119]
	s_delay_alu instid0(VALU_DEP_2) | instskip(SKIP_2) | instid1(VALU_DEP_3)
	v_fma_f64 v[185:186], v[46:47], s[2:3], v[181:182]
	v_fma_f64 v[160:161], v[46:47], s[46:47], v[181:182]
	;; [unrolled: 1-line block ×3, first 2 shown]
	v_add_f64_e32 v[120:121], v[185:186], v[120:121]
	v_mul_f64_e32 v[185:186], s[38:39], v[112:113]
	s_delay_alu instid0(VALU_DEP_4) | instskip(NEXT) | instid1(VALU_DEP_2)
	v_add_f64_e32 v[116:117], v[160:161], v[116:117]
	v_fma_f64 v[187:188], v[104:105], s[28:29], v[185:186]
	v_fma_f64 v[160:161], v[104:105], s[28:29], -v[185:186]
	s_delay_alu instid0(VALU_DEP_2) | instskip(SKIP_1) | instid1(VALU_DEP_3)
	v_add_f64_e32 v[122:123], v[187:188], v[122:123]
	v_mul_f64_e32 v[187:188], s[28:29], v[114:115]
	v_add_f64_e32 v[118:119], v[160:161], v[118:119]
	s_delay_alu instid0(VALU_DEP_2) | instskip(SKIP_1) | instid1(VALU_DEP_2)
	v_fma_f64 v[189:190], v[106:107], s[48:49], v[187:188]
	v_fma_f64 v[160:161], v[106:107], s[38:39], v[187:188]
	v_add_f64_e32 v[120:121], v[189:190], v[120:121]
	v_mul_f64_e32 v[189:190], s[18:19], v[128:129]
	s_delay_alu instid0(VALU_DEP_3) | instskip(NEXT) | instid1(VALU_DEP_2)
	v_add_f64_e32 v[116:117], v[160:161], v[116:117]
	v_fma_f64 v[191:192], v[124:125], s[34:35], v[189:190]
	v_fma_f64 v[160:161], v[124:125], s[34:35], -v[189:190]
	s_delay_alu instid0(VALU_DEP_2) | instskip(SKIP_1) | instid1(VALU_DEP_3)
	v_add_f64_e32 v[122:123], v[191:192], v[122:123]
	v_mul_f64_e32 v[191:192], s[34:35], v[130:131]
	v_add_f64_e32 v[118:119], v[160:161], v[118:119]
	s_delay_alu instid0(VALU_DEP_2) | instskip(SKIP_1) | instid1(VALU_DEP_2)
	v_fma_f64 v[193:194], v[126:127], s[50:51], v[191:192]
	v_fma_f64 v[160:161], v[126:127], s[18:19], v[191:192]
	v_add_f64_e32 v[120:121], v[193:194], v[120:121]
	v_mul_f64_e32 v[193:194], s[58:59], v[144:145]
	s_delay_alu instid0(VALU_DEP_3) | instskip(NEXT) | instid1(VALU_DEP_2)
	;; [unrolled: 13-line block ×4, first 2 shown]
	v_add_f64_e32 v[116:117], v[160:161], v[116:117]
	v_fma_f64 v[203:204], v[168:169], s[42:43], v[201:202]
	v_fma_f64 v[160:161], v[168:169], s[42:43], -v[201:202]
	s_delay_alu instid0(VALU_DEP_2) | instskip(SKIP_1) | instid1(VALU_DEP_3)
	v_add_f64_e32 v[122:123], v[203:204], v[122:123]
	v_mul_f64_e32 v[203:204], s[42:43], v[178:179]
	v_add_f64_e32 v[118:119], v[160:161], v[118:119]
	s_delay_alu instid0(VALU_DEP_2) | instskip(SKIP_1) | instid1(VALU_DEP_2)
	v_fma_f64 v[160:161], v[170:171], s[40:41], v[203:204]
	v_fma_f64 v[207:208], v[170:171], s[54:55], v[203:204]
	v_add_f64_e32 v[160:161], v[160:161], v[116:117]
	v_fma_f64 v[116:117], v[183:184], s[20:21], -v[211:212]
	s_delay_alu instid0(VALU_DEP_3) | instskip(SKIP_2) | instid1(VALU_DEP_4)
	v_add_f64_e32 v[207:208], v[207:208], v[120:121]
	v_fma_f64 v[120:121], v[183:184], s[20:21], v[211:212]
	v_mul_f64_e32 v[211:212], s[2:3], v[205:206]
	v_add_f64_e32 v[116:117], v[116:117], v[118:119]
	v_add_f64_e32 v[118:119], v[181:182], v[160:161]
	v_mul_f64_e32 v[160:161], s[44:45], v[52:53]
	v_add_f64_e32 v[120:121], v[120:121], v[122:123]
	v_fma_f64 v[122:123], v[66:67], s[30:31], v[213:214]
	v_mul_f64_e32 v[213:214], s[16:17], v[209:210]
	v_mul_f64_e32 v[52:53], s[48:49], v[52:53]
	v_fma_f64 v[181:182], v[44:45], s[20:21], v[160:161]
	v_fma_f64 v[160:161], v[44:45], s[20:21], -v[160:161]
	v_add_f64_e32 v[122:123], v[122:123], v[207:208]
	s_delay_alu instid0(VALU_DEP_3) | instskip(SKIP_1) | instid1(VALU_DEP_4)
	v_add_f64_e32 v[110:111], v[181:182], v[110:111]
	v_mul_f64_e32 v[181:182], s[20:21], v[54:55]
	v_add_f64_e32 v[102:103], v[160:161], v[102:103]
	v_mul_f64_e32 v[54:55], s[28:29], v[54:55]
	s_delay_alu instid0(VALU_DEP_3) | instskip(SKIP_2) | instid1(VALU_DEP_3)
	v_fma_f64 v[185:186], v[46:47], s[30:31], v[181:182]
	v_fma_f64 v[160:161], v[46:47], s[44:45], v[181:182]
	;; [unrolled: 1-line block ×3, first 2 shown]
	v_add_f64_e32 v[108:109], v[185:186], v[108:109]
	v_mul_f64_e32 v[185:186], s[22:23], v[112:113]
	s_delay_alu instid0(VALU_DEP_4) | instskip(SKIP_1) | instid1(VALU_DEP_3)
	v_add_f64_e32 v[100:101], v[160:161], v[100:101]
	v_mul_f64_e32 v[112:113], s[18:19], v[112:113]
	v_fma_f64 v[187:188], v[104:105], s[14:15], v[185:186]
	v_fma_f64 v[160:161], v[104:105], s[14:15], -v[185:186]
	v_mul_f64_e32 v[185:186], s[14:15], v[209:210]
	s_delay_alu instid0(VALU_DEP_3) | instskip(SKIP_1) | instid1(VALU_DEP_4)
	v_add_f64_e32 v[110:111], v[187:188], v[110:111]
	v_mul_f64_e32 v[187:188], s[14:15], v[114:115]
	v_add_f64_e32 v[102:103], v[160:161], v[102:103]
	v_mul_f64_e32 v[114:115], s[34:35], v[114:115]
	s_delay_alu instid0(VALU_DEP_3) | instskip(SKIP_1) | instid1(VALU_DEP_2)
	v_fma_f64 v[189:190], v[106:107], s[58:59], v[187:188]
	v_fma_f64 v[160:161], v[106:107], s[22:23], v[187:188]
	v_add_f64_e32 v[108:109], v[189:190], v[108:109]
	v_mul_f64_e32 v[189:190], s[56:57], v[128:129]
	s_delay_alu instid0(VALU_DEP_3) | instskip(SKIP_1) | instid1(VALU_DEP_3)
	v_add_f64_e32 v[100:101], v[160:161], v[100:101]
	v_mul_f64_e32 v[128:129], s[52:53], v[128:129]
	v_fma_f64 v[191:192], v[124:125], s[26:27], v[189:190]
	v_fma_f64 v[160:161], v[124:125], s[26:27], -v[189:190]
	s_delay_alu instid0(VALU_DEP_2) | instskip(SKIP_1) | instid1(VALU_DEP_3)
	v_add_f64_e32 v[110:111], v[191:192], v[110:111]
	v_mul_f64_e32 v[191:192], s[26:27], v[130:131]
	v_add_f64_e32 v[102:103], v[160:161], v[102:103]
	v_mul_f64_e32 v[130:131], s[24:25], v[130:131]
	s_delay_alu instid0(VALU_DEP_3) | instskip(SKIP_1) | instid1(VALU_DEP_2)
	v_fma_f64 v[193:194], v[126:127], s[12:13], v[191:192]
	v_fma_f64 v[160:161], v[126:127], s[56:57], v[191:192]
	v_add_f64_e32 v[108:109], v[193:194], v[108:109]
	v_mul_f64_e32 v[193:194], s[38:39], v[144:145]
	s_delay_alu instid0(VALU_DEP_3) | instskip(SKIP_1) | instid1(VALU_DEP_3)
	v_add_f64_e32 v[100:101], v[160:161], v[100:101]
	v_mul_f64_e32 v[144:145], s[12:13], v[144:145]
	v_fma_f64 v[195:196], v[136:137], s[28:29], v[193:194]
	v_fma_f64 v[160:161], v[136:137], s[28:29], -v[193:194]
	s_delay_alu instid0(VALU_DEP_2) | instskip(SKIP_1) | instid1(VALU_DEP_3)
	;; [unrolled: 15-line block ×3, first 2 shown]
	v_add_f64_e32 v[110:111], v[199:200], v[110:111]
	v_mul_f64_e32 v[199:200], s[42:43], v[162:163]
	v_add_f64_e32 v[102:103], v[160:161], v[102:103]
	s_delay_alu instid0(VALU_DEP_2) | instskip(SKIP_1) | instid1(VALU_DEP_2)
	v_fma_f64 v[201:202], v[60:61], s[54:55], v[199:200]
	v_fma_f64 v[160:161], v[60:61], s[40:41], v[199:200]
	v_add_f64_e32 v[108:109], v[201:202], v[108:109]
	v_mul_f64_e32 v[201:202], s[52:53], v[176:177]
	s_delay_alu instid0(VALU_DEP_3) | instskip(NEXT) | instid1(VALU_DEP_2)
	v_add_f64_e32 v[100:101], v[160:161], v[100:101]
	v_fma_f64 v[203:204], v[168:169], s[24:25], v[201:202]
	v_fma_f64 v[160:161], v[168:169], s[24:25], -v[201:202]
	s_delay_alu instid0(VALU_DEP_2) | instskip(SKIP_1) | instid1(VALU_DEP_3)
	v_add_f64_e32 v[110:111], v[203:204], v[110:111]
	v_mul_f64_e32 v[203:204], s[24:25], v[178:179]
	v_add_f64_e32 v[102:103], v[160:161], v[102:103]
	s_delay_alu instid0(VALU_DEP_2) | instskip(SKIP_1) | instid1(VALU_DEP_2)
	v_fma_f64 v[160:161], v[170:171], s[52:53], v[203:204]
	v_fma_f64 v[207:208], v[170:171], s[36:37], v[203:204]
	v_add_f64_e32 v[160:161], v[160:161], v[100:101]
	v_fma_f64 v[100:101], v[183:184], s[16:17], -v[211:212]
	s_delay_alu instid0(VALU_DEP_3) | instskip(SKIP_1) | instid1(VALU_DEP_3)
	v_add_f64_e32 v[207:208], v[207:208], v[108:109]
	v_fma_f64 v[108:109], v[183:184], s[16:17], v[211:212]
	v_add_f64_e32 v[100:101], v[100:101], v[102:103]
	v_add_f64_e32 v[102:103], v[181:182], v[160:161]
	v_fma_f64 v[160:161], v[44:45], s[28:29], v[52:53]
	v_fma_f64 v[44:45], v[44:45], s[28:29], -v[52:53]
	v_fma_f64 v[52:53], v[104:105], s[34:35], -v[112:113]
	v_mul_f64_e32 v[181:182], s[58:59], v[205:206]
	v_add_f64_e32 v[108:109], v[108:109], v[110:111]
	v_fma_f64 v[110:111], v[66:67], s[46:47], v[213:214]
	v_add_f64_e32 v[50:51], v[160:161], v[50:51]
	v_fma_f64 v[160:161], v[46:47], s[38:39], v[54:55]
	v_fma_f64 v[46:47], v[46:47], s[48:49], v[54:55]
	v_fma_f64 v[54:55], v[106:107], s[18:19], v[114:115]
	v_add_f64_e32 v[40:41], v[44:45], v[40:41]
	v_fma_f64 v[44:45], v[124:125], s[24:25], -v[128:129]
	v_add_f64_e32 v[110:111], v[110:111], v[207:208]
	v_add_f64_e32 v[48:49], v[160:161], v[48:49]
	v_fma_f64 v[160:161], v[104:105], s[34:35], v[112:113]
	v_add_f64_e32 v[42:43], v[46:47], v[42:43]
	v_fma_f64 v[46:47], v[126:127], s[52:53], v[130:131]
	v_add_f64_e32 v[40:41], v[52:53], v[40:41]
	v_fma_f64 v[52:53], v[136:137], s[26:27], -v[144:145]
	v_add_f64_e32 v[50:51], v[160:161], v[50:51]
	v_fma_f64 v[160:161], v[106:107], s[50:51], v[114:115]
	v_add_f64_e32 v[42:43], v[54:55], v[42:43]
	v_fma_f64 v[54:55], v[138:139], s[12:13], v[146:147]
	v_add_f64_e32 v[40:41], v[44:45], v[40:41]
	v_fma_f64 v[44:45], v[156:157], s[20:21], -v[158:159]
	v_add_f64_e32 v[48:49], v[160:161], v[48:49]
	v_fma_f64 v[160:161], v[124:125], s[24:25], v[128:129]
	v_add_f64_e32 v[42:43], v[46:47], v[42:43]
	v_add_f64_e32 v[40:41], v[52:53], v[40:41]
	s_delay_alu instid0(VALU_DEP_3) | instskip(SKIP_1) | instid1(VALU_DEP_4)
	v_add_f64_e32 v[50:51], v[160:161], v[50:51]
	v_fma_f64 v[160:161], v[126:127], s[36:37], v[130:131]
	v_add_f64_e32 v[42:43], v[54:55], v[42:43]
	s_delay_alu instid0(VALU_DEP_4) | instskip(SKIP_1) | instid1(VALU_DEP_4)
	v_add_f64_e32 v[40:41], v[44:45], v[40:41]
	v_fma_f64 v[44:45], v[183:184], s[14:15], -v[181:182]
	v_add_f64_e32 v[48:49], v[160:161], v[48:49]
	v_fma_f64 v[160:161], v[136:137], s[26:27], v[144:145]
	s_delay_alu instid0(VALU_DEP_1) | instskip(SKIP_1) | instid1(VALU_DEP_1)
	v_add_f64_e32 v[50:51], v[160:161], v[50:51]
	v_fma_f64 v[160:161], v[138:139], s[56:57], v[146:147]
	v_add_f64_e32 v[48:49], v[160:161], v[48:49]
	v_fma_f64 v[160:161], v[156:157], s[20:21], v[158:159]
	s_delay_alu instid0(VALU_DEP_1) | instskip(SKIP_1) | instid1(VALU_DEP_1)
	v_add_f64_e32 v[50:51], v[160:161], v[50:51]
	v_mul_f64_e32 v[160:161], s[20:21], v[162:163]
	v_fma_f64 v[162:163], v[60:61], s[30:31], v[160:161]
	v_fma_f64 v[46:47], v[60:61], s[44:45], v[160:161]
	s_delay_alu instid0(VALU_DEP_2) | instskip(SKIP_1) | instid1(VALU_DEP_3)
	v_add_f64_e32 v[48:49], v[162:163], v[48:49]
	v_mul_f64_e32 v[162:163], s[2:3], v[176:177]
	v_add_f64_e32 v[42:43], v[46:47], v[42:43]
	v_fma_f64 v[46:47], v[66:67], s[58:59], v[185:186]
	s_delay_alu instid0(VALU_DEP_3) | instskip(SKIP_1) | instid1(VALU_DEP_2)
	v_fma_f64 v[176:177], v[168:169], s[16:17], v[162:163]
	v_fma_f64 v[52:53], v[168:169], s[16:17], -v[162:163]
	v_add_f64_e32 v[50:51], v[176:177], v[50:51]
	v_mul_f64_e32 v[176:177], s[16:17], v[178:179]
	s_delay_alu instid0(VALU_DEP_3) | instskip(NEXT) | instid1(VALU_DEP_2)
	v_add_f64_e32 v[40:41], v[52:53], v[40:41]
	v_fma_f64 v[178:179], v[170:171], s[46:47], v[176:177]
	v_fma_f64 v[54:55], v[170:171], s[2:3], v[176:177]
	s_delay_alu instid0(VALU_DEP_3) | instskip(SKIP_2) | instid1(VALU_DEP_3)
	v_add_f64_e32 v[40:41], v[44:45], v[40:41]
	s_mov_b32 s2, 0xd10d4986
	s_mov_b32 s3, 0x3f6c5894
	v_add_f64_e32 v[178:179], v[178:179], v[48:49]
	v_fma_f64 v[48:49], v[183:184], s[14:15], v[181:182]
	s_delay_alu instid0(VALU_DEP_4) | instskip(NEXT) | instid1(VALU_DEP_2)
	v_add_f64_e32 v[42:43], v[54:55], v[42:43]
	v_add_f64_e32 v[48:49], v[48:49], v[50:51]
	v_fma_f64 v[50:51], v[66:67], s[22:23], v[185:186]
	s_delay_alu instid0(VALU_DEP_3) | instskip(NEXT) | instid1(VALU_DEP_2)
	v_add_f64_e32 v[42:43], v[46:47], v[42:43]
	v_add_f64_e32 v[50:51], v[50:51], v[178:179]
	ds_store_b128 v180, v[68:71] offset:272
	ds_store_b128 v180, v[172:175] offset:544
	;; [unrolled: 1-line block ×16, first 2 shown]
	ds_store_b128 v180, v[0:3]
	global_wb scope:SCOPE_SE
	s_wait_dscnt 0x0
	s_barrier_signal -1
	s_barrier_wait -1
	global_inv scope:SCOPE_SE
	s_clause 0x4
	scratch_load_b128 v[6:9], off, off offset:240 th:TH_LOAD_LU
	scratch_load_b128 v[10:13], off, off offset:144 th:TH_LOAD_LU
	scratch_load_b128 v[22:25], off, off offset:128 th:TH_LOAD_LU
	scratch_load_b128 v[14:17], off, off offset:160 th:TH_LOAD_LU
	scratch_load_b128 v[18:21], off, off offset:176 th:TH_LOAD_LU
	ds_load_b128 v[0:3], v180
	s_clause 0x9
	scratch_load_b128 v[26:29], off, off offset:16 th:TH_LOAD_LU
	scratch_load_b128 v[42:45], off, off th:TH_LOAD_LU
	scratch_load_b128 v[30:33], off, off offset:48 th:TH_LOAD_LU
	scratch_load_b128 v[46:49], off, off offset:32 th:TH_LOAD_LU
	;; [unrolled: 1-line block ×8, first 2 shown]
	s_wait_dscnt 0x0
	v_mul_f64_e32 v[4:5], v[243:244], v[2:3]
	s_delay_alu instid0(VALU_DEP_1) | instskip(SKIP_1) | instid1(VALU_DEP_1)
	v_fma_f64 v[68:69], v[241:242], v[0:1], v[4:5]
	v_mul_f64_e32 v[0:1], v[243:244], v[0:1]
	v_fma_f64 v[64:65], v[241:242], v[2:3], -v[0:1]
	ds_load_b128 v[2:5], v180 offset:272
	s_wait_loadcnt_dscnt 0xe00
	v_mul_f64_e32 v[0:1], v[8:9], v[4:5]
	s_delay_alu instid0(VALU_DEP_1) | instskip(SKIP_2) | instid1(VALU_DEP_2)
	v_fma_f64 v[0:1], v[6:7], v[2:3], v[0:1]
	v_mul_f64_e32 v[2:3], v[8:9], v[2:3]
	s_wait_alu 0xfffe
	v_mul_f64_e32 v[0:1], s[2:3], v[0:1]
	s_delay_alu instid0(VALU_DEP_2) | instskip(SKIP_4) | instid1(VALU_DEP_2)
	v_fma_f64 v[2:3], v[6:7], v[4:5], -v[2:3]
	ds_load_b128 v[6:9], v180 offset:544
	s_wait_loadcnt_dscnt 0xd00
	v_mul_f64_e32 v[4:5], v[12:13], v[8:9]
	v_mul_f64_e32 v[2:3], s[2:3], v[2:3]
	v_fma_f64 v[4:5], v[10:11], v[6:7], v[4:5]
	v_mul_f64_e32 v[6:7], v[12:13], v[6:7]
	s_delay_alu instid0(VALU_DEP_1) | instskip(SKIP_3) | instid1(VALU_DEP_1)
	v_fma_f64 v[6:7], v[10:11], v[8:9], -v[6:7]
	ds_load_b128 v[10:13], v180 offset:816
	s_wait_loadcnt_dscnt 0xb00
	v_mul_f64_e32 v[8:9], v[16:17], v[12:13]
	v_fma_f64 v[8:9], v[14:15], v[10:11], v[8:9]
	v_mul_f64_e32 v[10:11], v[16:17], v[10:11]
	s_delay_alu instid0(VALU_DEP_1) | instskip(SKIP_3) | instid1(VALU_DEP_1)
	v_fma_f64 v[10:11], v[14:15], v[12:13], -v[10:11]
	ds_load_b128 v[14:17], v180 offset:1088
	s_wait_loadcnt_dscnt 0xa00
	v_mul_f64_e32 v[12:13], v[20:21], v[16:17]
	v_fma_f64 v[12:13], v[18:19], v[14:15], v[12:13]
	v_mul_f64_e32 v[14:15], v[20:21], v[14:15]
	s_delay_alu instid0(VALU_DEP_1) | instskip(SKIP_3) | instid1(VALU_DEP_1)
	v_fma_f64 v[14:15], v[18:19], v[16:17], -v[14:15]
	ds_load_b128 v[18:21], v180 offset:1360
	s_wait_dscnt 0x0
	v_mul_f64_e32 v[16:17], v[24:25], v[20:21]
	v_fma_f64 v[16:17], v[22:23], v[18:19], v[16:17]
	v_mul_f64_e32 v[18:19], v[24:25], v[18:19]
	s_delay_alu instid0(VALU_DEP_1) | instskip(SKIP_3) | instid1(VALU_DEP_1)
	v_fma_f64 v[18:19], v[22:23], v[20:21], -v[18:19]
	ds_load_b128 v[20:23], v180 offset:1632
	s_wait_loadcnt_dscnt 0x900
	v_mul_f64_e32 v[24:25], v[28:29], v[22:23]
	v_fma_f64 v[24:25], v[26:27], v[20:21], v[24:25]
	v_mul_f64_e32 v[20:21], v[28:29], v[20:21]
	s_delay_alu instid0(VALU_DEP_1) | instskip(SKIP_3) | instid1(VALU_DEP_1)
	v_fma_f64 v[26:27], v[26:27], v[22:23], -v[20:21]
	ds_load_b128 v[20:23], v180 offset:1904
	s_wait_loadcnt_dscnt 0x700
	;; [unrolled: 7-line block ×4, first 2 shown]
	v_mul_f64_e32 v[36:37], v[40:41], v[22:23]
	v_fma_f64 v[36:37], v[38:39], v[20:21], v[36:37]
	v_mul_f64_e32 v[20:21], v[40:41], v[20:21]
	s_delay_alu instid0(VALU_DEP_1) | instskip(SKIP_3) | instid1(VALU_DEP_1)
	v_fma_f64 v[38:39], v[38:39], v[22:23], -v[20:21]
	ds_load_b128 v[20:23], v180 offset:2720
	s_wait_dscnt 0x0
	v_mul_f64_e32 v[40:41], v[44:45], v[22:23]
	v_fma_f64 v[40:41], v[42:43], v[20:21], v[40:41]
	v_mul_f64_e32 v[20:21], v[44:45], v[20:21]
	s_delay_alu instid0(VALU_DEP_1) | instskip(SKIP_3) | instid1(VALU_DEP_1)
	v_fma_f64 v[42:43], v[42:43], v[22:23], -v[20:21]
	ds_load_b128 v[20:23], v180 offset:2992
	s_wait_dscnt 0x0
	;; [unrolled: 7-line block ×3, first 2 shown]
	v_mul_f64_e32 v[48:49], v[52:53], v[22:23]
	v_fma_f64 v[48:49], v[50:51], v[20:21], v[48:49]
	v_mul_f64_e32 v[20:21], v[52:53], v[20:21]
	s_delay_alu instid0(VALU_DEP_1) | instskip(SKIP_3) | instid1(VALU_DEP_1)
	v_fma_f64 v[50:51], v[50:51], v[22:23], -v[20:21]
	ds_load_b128 v[20:23], v180 offset:3536
	s_wait_loadcnt_dscnt 0x200
	v_mul_f64_e32 v[52:53], v[56:57], v[22:23]
	v_fma_f64 v[52:53], v[54:55], v[20:21], v[52:53]
	v_mul_f64_e32 v[20:21], v[56:57], v[20:21]
	s_delay_alu instid0(VALU_DEP_1) | instskip(SKIP_3) | instid1(VALU_DEP_1)
	v_fma_f64 v[54:55], v[54:55], v[22:23], -v[20:21]
	ds_load_b128 v[20:23], v180 offset:3808
	s_wait_loadcnt_dscnt 0x100
	;; [unrolled: 7-line block ×3, first 2 shown]
	v_mul_f64_e32 v[60:61], v[72:73], v[22:23]
	v_fma_f64 v[60:61], v[70:71], v[20:21], v[60:61]
	v_mul_f64_e32 v[20:21], v[72:73], v[20:21]
	s_delay_alu instid0(VALU_DEP_1) | instskip(SKIP_4) | instid1(VALU_DEP_1)
	v_fma_f64 v[62:63], v[70:71], v[22:23], -v[20:21]
	scratch_load_b128 v[70:73], off, off offset:224 th:TH_LOAD_LU ; 16-byte Folded Reload
	ds_load_b128 v[20:23], v180 offset:4352
	s_wait_loadcnt_dscnt 0x0
	v_mul_f64_e32 v[66:67], v[72:73], v[22:23]
	v_fma_f64 v[66:67], v[70:71], v[20:21], v[66:67]
	v_mul_f64_e32 v[20:21], v[72:73], v[20:21]
	scratch_load_b32 v72, off, off offset:256 th:TH_LOAD_LU ; 4-byte Folded Reload
	v_fma_f64 v[70:71], v[70:71], v[22:23], -v[20:21]
	v_mad_co_u64_u32 v[20:21], null, s6, v254, 0
	s_delay_alu instid0(VALU_DEP_1) | instskip(NEXT) | instid1(VALU_DEP_1)
	v_mad_co_u64_u32 v[21:22], null, s7, v254, v[21:22]
	v_lshlrev_b64_e32 v[20:21], 4, v[20:21]
	s_wait_loadcnt 0x0
	v_mad_co_u64_u32 v[22:23], null, s4, v72, 0
	s_delay_alu instid0(VALU_DEP_1) | instskip(NEXT) | instid1(VALU_DEP_1)
	v_mad_co_u64_u32 v[72:73], null, s5, v72, v[23:24]
	v_mov_b32_e32 v23, v72
	s_delay_alu instid0(VALU_DEP_4) | instskip(SKIP_2) | instid1(VALU_DEP_3)
	v_add_co_u32 v72, vcc_lo, s0, v20
	s_wait_alu 0xfffd
	v_add_co_ci_u32_e32 v73, vcc_lo, s1, v21, vcc_lo
	v_lshlrev_b64_e32 v[20:21], 4, v[22:23]
	v_mul_f64_e32 v[22:23], s[2:3], v[64:65]
	s_mul_u64 s[0:1], s[4:5], 0x110
	s_delay_alu instid0(VALU_DEP_2) | instskip(SKIP_1) | instid1(VALU_DEP_3)
	v_add_co_u32 v72, vcc_lo, v72, v20
	s_wait_alu 0xfffd
	v_add_co_ci_u32_e32 v73, vcc_lo, v73, v21, vcc_lo
	v_mul_f64_e32 v[20:21], s[2:3], v[68:69]
	global_store_b128 v[72:73], v[20:23], off
	s_wait_alu 0xfffe
	v_add_co_u32 v20, vcc_lo, v72, s0
	s_wait_alu 0xfffd
	v_add_co_ci_u32_e32 v21, vcc_lo, s1, v73, vcc_lo
	v_mul_f64_e32 v[22:23], s[2:3], v[58:59]
	global_store_b128 v[20:21], v[0:3], off
	v_mul_f64_e32 v[0:1], s[2:3], v[4:5]
	v_mul_f64_e32 v[2:3], s[2:3], v[6:7]
	v_add_co_u32 v4, vcc_lo, v20, s0
	s_wait_alu 0xfffd
	v_add_co_ci_u32_e32 v5, vcc_lo, s1, v21, vcc_lo
	v_mul_f64_e32 v[6:7], s[2:3], v[42:43]
	v_mul_f64_e32 v[20:21], s[2:3], v[56:57]
	global_store_b128 v[4:5], v[0:3], off
	v_mul_f64_e32 v[0:1], s[2:3], v[8:9]
	v_mul_f64_e32 v[2:3], s[2:3], v[10:11]
	v_add_co_u32 v4, vcc_lo, v4, s0
	s_wait_alu 0xfffd
	v_add_co_ci_u32_e32 v5, vcc_lo, s1, v5, vcc_lo
	v_mul_f64_e32 v[10:11], s[2:3], v[46:47]
	global_store_b128 v[4:5], v[0:3], off
	v_mul_f64_e32 v[0:1], s[2:3], v[12:13]
	v_mul_f64_e32 v[2:3], s[2:3], v[14:15]
	v_add_co_u32 v4, vcc_lo, v4, s0
	s_wait_alu 0xfffd
	v_add_co_ci_u32_e32 v5, vcc_lo, s1, v5, vcc_lo
	v_mul_f64_e32 v[12:13], s[2:3], v[48:49]
	v_mul_f64_e32 v[14:15], s[2:3], v[50:51]
	global_store_b128 v[4:5], v[0:3], off
	v_mul_f64_e32 v[0:1], s[2:3], v[16:17]
	v_mul_f64_e32 v[2:3], s[2:3], v[18:19]
	v_add_co_u32 v4, vcc_lo, v4, s0
	s_wait_alu 0xfffd
	v_add_co_ci_u32_e32 v5, vcc_lo, s1, v5, vcc_lo
	v_mul_f64_e32 v[16:17], s[2:3], v[52:53]
	;; [unrolled: 8-line block ×4, first 2 shown]
	s_delay_alu instid0(VALU_DEP_3) | instskip(SKIP_1) | instid1(VALU_DEP_3)
	v_add_co_u32 v8, vcc_lo, v4, s0
	s_wait_alu 0xfffd
	v_add_co_ci_u32_e32 v9, vcc_lo, s1, v5, vcc_lo
	v_mul_f64_e32 v[30:31], s[2:3], v[70:71]
	global_store_b128 v[4:5], v[0:3], off
	v_mul_f64_e32 v[0:1], s[2:3], v[32:33]
	v_mul_f64_e32 v[2:3], s[2:3], v[34:35]
	;; [unrolled: 1-line block ×3, first 2 shown]
	v_add_co_u32 v32, vcc_lo, v8, s0
	s_wait_alu 0xfffd
	v_add_co_ci_u32_e32 v33, vcc_lo, s1, v9, vcc_lo
	s_delay_alu instid0(VALU_DEP_2) | instskip(SKIP_1) | instid1(VALU_DEP_2)
	v_add_co_u32 v34, vcc_lo, v32, s0
	s_wait_alu 0xfffd
	v_add_co_ci_u32_e32 v35, vcc_lo, s1, v33, vcc_lo
	global_store_b128 v[8:9], v[0:3], off
	v_mul_f64_e32 v[0:1], s[2:3], v[36:37]
	v_mul_f64_e32 v[2:3], s[2:3], v[38:39]
	;; [unrolled: 1-line block ×3, first 2 shown]
	global_store_b128 v[32:33], v[0:3], off
	v_add_co_u32 v0, vcc_lo, v34, s0
	s_wait_alu 0xfffd
	v_add_co_ci_u32_e32 v1, vcc_lo, s1, v35, vcc_lo
	global_store_b128 v[34:35], v[4:7], off
	v_add_co_u32 v2, vcc_lo, v0, s0
	s_wait_alu 0xfffd
	v_add_co_ci_u32_e32 v3, vcc_lo, s1, v1, vcc_lo
	s_delay_alu instid0(VALU_DEP_2) | instskip(SKIP_1) | instid1(VALU_DEP_2)
	v_add_co_u32 v32, vcc_lo, v2, s0
	s_wait_alu 0xfffd
	v_add_co_ci_u32_e32 v33, vcc_lo, s1, v3, vcc_lo
	s_delay_alu instid0(VALU_DEP_2) | instskip(SKIP_1) | instid1(VALU_DEP_2)
	;; [unrolled: 4-line block ×4, first 2 shown]
	v_add_co_u32 v34, vcc_lo, v6, s0
	s_wait_alu 0xfffd
	v_add_co_ci_u32_e32 v35, vcc_lo, s1, v7, vcc_lo
	global_store_b128 v[0:1], v[8:11], off
	global_store_b128 v[2:3], v[12:15], off
	global_store_b128 v[32:33], v[16:19], off
	global_store_b128 v[4:5], v[20:23], off
	global_store_b128 v[6:7], v[24:27], off
	global_store_b128 v[34:35], v[28:31], off
.LBB0_2:
	s_nop 0
	s_sendmsg sendmsg(MSG_DEALLOC_VGPRS)
	s_endpgm
	.section	.rodata,"a",@progbits
	.p2align	6, 0x0
	.amdhsa_kernel bluestein_single_fwd_len289_dim1_dp_op_CI_CI
		.amdhsa_group_segment_fixed_size 32368
		.amdhsa_private_segment_fixed_size 416
		.amdhsa_kernarg_size 104
		.amdhsa_user_sgpr_count 2
		.amdhsa_user_sgpr_dispatch_ptr 0
		.amdhsa_user_sgpr_queue_ptr 0
		.amdhsa_user_sgpr_kernarg_segment_ptr 1
		.amdhsa_user_sgpr_dispatch_id 0
		.amdhsa_user_sgpr_private_segment_size 0
		.amdhsa_wavefront_size32 1
		.amdhsa_uses_dynamic_stack 0
		.amdhsa_enable_private_segment 1
		.amdhsa_system_sgpr_workgroup_id_x 1
		.amdhsa_system_sgpr_workgroup_id_y 0
		.amdhsa_system_sgpr_workgroup_id_z 0
		.amdhsa_system_sgpr_workgroup_info 0
		.amdhsa_system_vgpr_workitem_id 0
		.amdhsa_next_free_vgpr 256
		.amdhsa_next_free_sgpr 60
		.amdhsa_reserve_vcc 1
		.amdhsa_float_round_mode_32 0
		.amdhsa_float_round_mode_16_64 0
		.amdhsa_float_denorm_mode_32 3
		.amdhsa_float_denorm_mode_16_64 3
		.amdhsa_fp16_overflow 0
		.amdhsa_workgroup_processor_mode 1
		.amdhsa_memory_ordered 1
		.amdhsa_forward_progress 0
		.amdhsa_round_robin_scheduling 0
		.amdhsa_exception_fp_ieee_invalid_op 0
		.amdhsa_exception_fp_denorm_src 0
		.amdhsa_exception_fp_ieee_div_zero 0
		.amdhsa_exception_fp_ieee_overflow 0
		.amdhsa_exception_fp_ieee_underflow 0
		.amdhsa_exception_fp_ieee_inexact 0
		.amdhsa_exception_int_div_zero 0
	.end_amdhsa_kernel
	.text
.Lfunc_end0:
	.size	bluestein_single_fwd_len289_dim1_dp_op_CI_CI, .Lfunc_end0-bluestein_single_fwd_len289_dim1_dp_op_CI_CI
                                        ; -- End function
	.section	.AMDGPU.csdata,"",@progbits
; Kernel info:
; codeLenInByte = 26032
; NumSgprs: 62
; NumVgprs: 256
; ScratchSize: 416
; MemoryBound: 0
; FloatMode: 240
; IeeeMode: 1
; LDSByteSize: 32368 bytes/workgroup (compile time only)
; SGPRBlocks: 7
; VGPRBlocks: 31
; NumSGPRsForWavesPerEU: 62
; NumVGPRsForWavesPerEU: 256
; Occupancy: 4
; WaveLimiterHint : 1
; COMPUTE_PGM_RSRC2:SCRATCH_EN: 1
; COMPUTE_PGM_RSRC2:USER_SGPR: 2
; COMPUTE_PGM_RSRC2:TRAP_HANDLER: 0
; COMPUTE_PGM_RSRC2:TGID_X_EN: 1
; COMPUTE_PGM_RSRC2:TGID_Y_EN: 0
; COMPUTE_PGM_RSRC2:TGID_Z_EN: 0
; COMPUTE_PGM_RSRC2:TIDIG_COMP_CNT: 0
	.text
	.p2alignl 7, 3214868480
	.fill 96, 4, 3214868480
	.type	__hip_cuid_811ec2a255e45f93,@object ; @__hip_cuid_811ec2a255e45f93
	.section	.bss,"aw",@nobits
	.globl	__hip_cuid_811ec2a255e45f93
__hip_cuid_811ec2a255e45f93:
	.byte	0                               ; 0x0
	.size	__hip_cuid_811ec2a255e45f93, 1

	.ident	"AMD clang version 19.0.0git (https://github.com/RadeonOpenCompute/llvm-project roc-6.4.0 25133 c7fe45cf4b819c5991fe208aaa96edf142730f1d)"
	.section	".note.GNU-stack","",@progbits
	.addrsig
	.addrsig_sym __hip_cuid_811ec2a255e45f93
	.amdgpu_metadata
---
amdhsa.kernels:
  - .args:
      - .actual_access:  read_only
        .address_space:  global
        .offset:         0
        .size:           8
        .value_kind:     global_buffer
      - .actual_access:  read_only
        .address_space:  global
        .offset:         8
        .size:           8
        .value_kind:     global_buffer
      - .actual_access:  read_only
        .address_space:  global
        .offset:         16
        .size:           8
        .value_kind:     global_buffer
      - .actual_access:  read_only
        .address_space:  global
        .offset:         24
        .size:           8
        .value_kind:     global_buffer
      - .actual_access:  read_only
        .address_space:  global
        .offset:         32
        .size:           8
        .value_kind:     global_buffer
      - .offset:         40
        .size:           8
        .value_kind:     by_value
      - .address_space:  global
        .offset:         48
        .size:           8
        .value_kind:     global_buffer
      - .address_space:  global
        .offset:         56
        .size:           8
        .value_kind:     global_buffer
      - .address_space:  global
        .offset:         64
        .size:           8
        .value_kind:     global_buffer
      - .address_space:  global
        .offset:         72
        .size:           8
        .value_kind:     global_buffer
      - .offset:         80
        .size:           4
        .value_kind:     by_value
      - .address_space:  global
        .offset:         88
        .size:           8
        .value_kind:     global_buffer
      - .address_space:  global
        .offset:         96
        .size:           8
        .value_kind:     global_buffer
    .group_segment_fixed_size: 32368
    .kernarg_segment_align: 8
    .kernarg_segment_size: 104
    .language:       OpenCL C
    .language_version:
      - 2
      - 0
    .max_flat_workgroup_size: 119
    .name:           bluestein_single_fwd_len289_dim1_dp_op_CI_CI
    .private_segment_fixed_size: 416
    .sgpr_count:     62
    .sgpr_spill_count: 0
    .symbol:         bluestein_single_fwd_len289_dim1_dp_op_CI_CI.kd
    .uniform_work_group_size: 1
    .uses_dynamic_stack: false
    .vgpr_count:     256
    .vgpr_spill_count: 103
    .wavefront_size: 32
    .workgroup_processor_mode: 1
amdhsa.target:   amdgcn-amd-amdhsa--gfx1201
amdhsa.version:
  - 1
  - 2
...

	.end_amdgpu_metadata
